;; amdgpu-corpus repo=ROCm/rocFFT kind=compiled arch=gfx1201 opt=O3
	.text
	.amdgcn_target "amdgcn-amd-amdhsa--gfx1201"
	.amdhsa_code_object_version 6
	.protected	bluestein_single_back_len17_dim1_dp_op_CI_CI ; -- Begin function bluestein_single_back_len17_dim1_dp_op_CI_CI
	.globl	bluestein_single_back_len17_dim1_dp_op_CI_CI
	.p2align	8
	.type	bluestein_single_back_len17_dim1_dp_op_CI_CI,@function
bluestein_single_back_len17_dim1_dp_op_CI_CI: ; @bluestein_single_back_len17_dim1_dp_op_CI_CI
; %bb.0:
	s_load_b128 s[12:15], s[0:1], 0x28
	v_mad_co_u64_u32 v[56:57], null, 0x78, ttmp9, v[0:1]
	v_mov_b32_e32 v57, 0
	s_mov_b32 s2, exec_lo
	s_wait_kmcnt 0x0
	s_delay_alu instid0(VALU_DEP_1)
	v_cmpx_gt_u64_e64 s[12:13], v[56:57]
	s_cbranch_execz .LBB0_2
; %bb.1:
	s_load_b128 s[4:7], s[0:1], 0x18
                                        ; implicit-def: $vgpr235 : SGPR spill to VGPR lane
                                        ; implicit-def: $vgpr234 : SGPR spill to VGPR lane
	s_mov_b32 s102, 0xacd6c6b4
	s_mov_b32 s30, 0x2b2883cd
	;; [unrolled: 1-line block ×8, first 2 shown]
	s_mov_b32 vcc_hi, 0x3fc7851a
	s_wait_kmcnt 0x0
	s_load_b128 s[8:11], s[4:5], 0x0
	s_mov_b32 s4, 0x5d8e7cdc
	s_mov_b32 s5, 0xbfd71e95
	s_wait_kmcnt 0x0
	v_mad_co_u64_u32 v[0:1], null, s10, v56, 0
	s_lshl_b64 s[2:3], s[8:9], 4
	s_delay_alu instid0(VALU_DEP_1) | instskip(SKIP_2) | instid1(VALU_DEP_1)
	v_mad_co_u64_u32 v[1:2], null, s11, v56, v[1:2]
	s_mov_b32 s10, 0x7c9e640b
	s_mov_b32 s11, 0xbfeca52d
	v_lshlrev_b64_e32 v[0:1], 4, v[0:1]
	s_delay_alu instid0(VALU_DEP_1) | instskip(NEXT) | instid1(VALU_DEP_2)
	v_add_co_u32 v20, vcc_lo, s14, v0
	v_add_co_ci_u32_e32 v21, vcc_lo, s15, v1, vcc_lo
	s_delay_alu instid0(VALU_DEP_2)
	v_add_co_u32 v4, vcc_lo, v20, s2
	global_load_b128 v[0:3], v[20:21], off
	s_wait_alu 0xfffd
	v_add_co_ci_u32_e32 v5, vcc_lo, s3, v21, vcc_lo
	s_lshl_b64 s[2:3], s[8:9], 5
	s_wait_alu 0xfffe
	v_add_co_u32 v8, vcc_lo, v20, s2
	global_load_b128 v[4:7], v[4:5], off
	s_wait_alu 0xfffd
	v_add_co_ci_u32_e32 v9, vcc_lo, s3, v21, vcc_lo
	s_lshl_b64 s[2:3], s[8:9], 6
	s_wait_alu 0xfffe
	;; [unrolled: 6-line block ×4, first 2 shown]
	v_add_co_u32 v22, vcc_lo, v20, s2
	global_load_b128 v[16:19], v[16:17], off
	s_wait_alu 0xfffd
	v_add_co_ci_u32_e32 v23, vcc_lo, s3, v21, vcc_lo
	s_load_b64 s[2:3], s[0:1], 0x0
	s_mov_b32 vcc_lo, s102
	global_load_b128 v[22:25], v[22:23], off
	s_wait_kmcnt 0x0
	s_clause 0x3
	s_load_b512 s[84:99], s[2:3], 0x0
	s_load_b512 s[68:83], s[2:3], 0x40
	;; [unrolled: 1-line block ×4, first 2 shown]
	v_writelane_b32 v235, s2, 0
	s_load_b512 s[52:67], s[2:3], 0xc0
	v_writelane_b32 v235, s3, 1
	s_mov_b32 s2, 0x2a9d6da3
	s_mov_b32 s3, 0xbfe58eea
	s_wait_loadcnt 0x5
	s_wait_kmcnt 0x0
	v_mul_f64_e32 v[26:27], s[86:87], v[2:3]
	v_mul_f64_e32 v[28:29], s[86:87], v[0:1]
	s_wait_loadcnt 0x4
	v_mul_f64_e32 v[30:31], s[90:91], v[6:7]
	s_delay_alu instid0(VALU_DEP_3) | instskip(SKIP_1) | instid1(VALU_DEP_4)
	v_fma_f64 v[0:1], v[0:1], s[84:85], v[26:27]
	v_mul_f64_e32 v[26:27], s[90:91], v[4:5]
	v_fma_f64 v[2:3], v[2:3], s[84:85], -v[28:29]
	s_wait_loadcnt 0x3
	v_mul_f64_e32 v[28:29], s[94:95], v[10:11]
	v_fma_f64 v[4:5], v[4:5], s[88:89], v[30:31]
	s_wait_loadcnt 0x2
	v_mul_f64_e32 v[30:31], s[70:71], v[14:15]
	v_fma_f64 v[6:7], v[6:7], s[88:89], -v[26:27]
	v_mul_f64_e32 v[26:27], s[94:95], v[8:9]
	v_fma_f64 v[8:9], v[8:9], s[92:93], v[28:29]
	s_wait_loadcnt 0x1
	v_mul_f64_e32 v[28:29], s[14:15], v[18:19]
	s_delay_alu instid0(VALU_DEP_3) | instskip(SKIP_4) | instid1(VALU_DEP_3)
	v_fma_f64 v[10:11], v[10:11], s[92:93], -v[26:27]
	v_mul_f64_e32 v[26:27], s[70:71], v[12:13]
	v_fma_f64 v[12:13], v[12:13], s[68:69], v[30:31]
	s_wait_loadcnt 0x0
	v_mul_f64_e32 v[30:31], s[38:39], v[24:25]
	v_fma_f64 v[14:15], v[14:15], s[68:69], -v[26:27]
	v_mul_f64_e32 v[26:27], s[14:15], v[16:17]
	v_fma_f64 v[16:17], v[16:17], s[12:13], v[28:29]
	v_mad_co_u64_u32 v[28:29], null, s8, 48, v[20:21]
	s_delay_alu instid0(VALU_DEP_1) | instskip(NEXT) | instid1(VALU_DEP_1)
	v_mad_co_u64_u32 v[32:33], null, s9, 48, v[29:30]
	v_mov_b32_e32 v29, v32
	v_fma_f64 v[18:19], v[18:19], s[12:13], -v[26:27]
	v_mul_f64_e32 v[26:27], s[38:39], v[22:23]
	v_fma_f64 v[22:23], v[22:23], s[36:37], v[30:31]
	v_writelane_b32 v235, s36, 2
	v_writelane_b32 v235, s37, 3
	;; [unrolled: 1-line block ×8, first 2 shown]
	v_fma_f64 v[24:25], v[24:25], s[36:37], -v[26:27]
	global_load_b128 v[26:29], v[28:29], off
	v_writelane_b32 v235, s44, 10
	v_writelane_b32 v235, s45, 11
	;; [unrolled: 1-line block ×8, first 2 shown]
	s_mov_b32 s38, 0x5d8e7cdc
	s_mov_b32 s36, 0x7faef3
	;; [unrolled: 1-line block ×4, first 2 shown]
	v_writelane_b32 v235, s12, 18
	v_writelane_b32 v234, s26, 0
	s_mov_b32 s45, 0x3fd71e95
	s_wait_alu 0xfffe
	s_mov_b32 s44, s38
	s_mov_b32 s41, 0x3fe58eea
	v_writelane_b32 v235, s13, 19
	v_writelane_b32 v234, s27, 1
	s_mov_b32 s12, 0x4363dd80
	s_mov_b32 s13, 0xbfe0d888
	s_wait_alu 0xfffe
	s_mov_b32 s100, s12
	v_writelane_b32 v235, s14, 20
	s_mov_b32 s47, 0x3fe9895b
	s_mov_b32 s43, 0x3fefdd0d
	v_writelane_b32 v234, s0, 2
	v_writelane_b32 v235, s15, 21
	s_mov_b32 s14, 0x6c9a05f6
	s_mov_b32 s15, 0xbfe9895b
	s_wait_alu 0xfffe
	s_mov_b32 s46, s14
	v_writelane_b32 v234, s1, 3
	v_writelane_b32 v235, s16, 22
	;; [unrolled: 1-line block ×11, first 2 shown]
	s_wait_loadcnt 0x0
	v_mul_f64_e32 v[30:31], s[98:99], v[28:29]
	v_mul_f64_e32 v[32:33], s[98:99], v[26:27]
	s_delay_alu instid0(VALU_DEP_2) | instskip(SKIP_1) | instid1(VALU_DEP_3)
	v_fma_f64 v[26:27], v[26:27], s[96:97], v[30:31]
	v_mad_co_u64_u32 v[30:31], null, 0x50, s8, v[20:21]
	v_fma_f64 v[28:29], v[28:29], s[96:97], -v[32:33]
	s_delay_alu instid0(VALU_DEP_2) | instskip(SKIP_4) | instid1(VALU_DEP_2)
	v_mad_co_u64_u32 v[31:32], null, 0x50, s9, v[31:32]
	global_load_b128 v[30:33], v[30:31], off
	s_wait_loadcnt 0x0
	v_mul_f64_e32 v[34:35], s[74:75], v[32:33]
	v_mul_f64_e32 v[36:37], s[74:75], v[30:31]
	v_fma_f64 v[30:31], v[30:31], s[72:73], v[34:35]
	v_mad_co_u64_u32 v[34:35], null, 0x60, s8, v[20:21]
	s_delay_alu instid0(VALU_DEP_3) | instskip(NEXT) | instid1(VALU_DEP_2)
	v_fma_f64 v[32:33], v[32:33], s[72:73], -v[36:37]
	v_mad_co_u64_u32 v[35:36], null, 0x60, s9, v[35:36]
	global_load_b128 v[34:37], v[34:35], off
	s_wait_loadcnt 0x0
	v_mul_f64_e32 v[38:39], s[78:79], v[36:37]
	v_mul_f64_e32 v[40:41], s[78:79], v[34:35]
	s_delay_alu instid0(VALU_DEP_2) | instskip(SKIP_1) | instid1(VALU_DEP_3)
	v_fma_f64 v[34:35], v[34:35], s[76:77], v[38:39]
	v_mad_co_u64_u32 v[38:39], null, 0x70, s8, v[20:21]
	v_fma_f64 v[36:37], v[36:37], s[76:77], -v[40:41]
	s_delay_alu instid0(VALU_DEP_2) | instskip(SKIP_4) | instid1(VALU_DEP_2)
	v_mad_co_u64_u32 v[39:40], null, 0x70, s9, v[39:40]
	global_load_b128 v[38:41], v[38:39], off
	s_wait_loadcnt 0x0
	v_mul_f64_e32 v[42:43], s[82:83], v[40:41]
	v_mul_f64_e32 v[44:45], s[82:83], v[38:39]
	v_fma_f64 v[38:39], v[38:39], s[80:81], v[42:43]
	v_mad_co_u64_u32 v[42:43], null, 0x90, s8, v[20:21]
	s_delay_alu instid0(VALU_DEP_3) | instskip(NEXT) | instid1(VALU_DEP_2)
	v_fma_f64 v[40:41], v[40:41], s[80:81], -v[44:45]
	v_mad_co_u64_u32 v[43:44], null, 0x90, s9, v[43:44]
	global_load_b128 v[42:45], v[42:43], off
	s_wait_loadcnt 0x0
	v_mul_f64_e32 v[46:47], s[18:19], v[44:45]
	v_mul_f64_e32 v[48:49], s[18:19], v[42:43]
	s_mov_b32 s18, 0x6ed5f1bb
	s_mov_b32 s19, 0xbfe348c8
	s_delay_alu instid0(VALU_DEP_2) | instskip(SKIP_1) | instid1(VALU_DEP_3)
	v_fma_f64 v[42:43], v[42:43], s[16:17], v[46:47]
	v_mad_co_u64_u32 v[46:47], null, 0xa0, s8, v[20:21]
	v_fma_f64 v[44:45], v[44:45], s[16:17], -v[48:49]
	s_mov_b32 s16, 0x370991
	s_mov_b32 s17, 0x3fedd6d0
	s_delay_alu instid0(VALU_DEP_2)
	v_mad_co_u64_u32 v[47:48], null, 0xa0, s9, v[47:48]
	global_load_b128 v[46:49], v[46:47], off
	s_wait_loadcnt 0x0
	v_mul_f64_e32 v[50:51], s[22:23], v[48:49]
	v_mul_f64_e32 v[52:53], s[22:23], v[46:47]
	s_mov_b32 s22, 0x3259b75e
	s_mov_b32 s23, 0x3fb79ee6
	s_delay_alu instid0(VALU_DEP_2) | instskip(SKIP_1) | instid1(VALU_DEP_3)
	v_fma_f64 v[46:47], v[46:47], s[20:21], v[50:51]
	v_mad_co_u64_u32 v[50:51], null, 0xb0, s8, v[20:21]
	v_fma_f64 v[48:49], v[48:49], s[20:21], -v[52:53]
	s_mov_b32 s20, 0x75d4884
	s_mov_b32 s21, 0x3fe7a5f6
	s_delay_alu instid0(VALU_DEP_2)
	v_mad_co_u64_u32 v[51:52], null, 0xb0, s9, v[51:52]
	global_load_b128 v[50:53], v[50:51], off
	s_wait_loadcnt 0x0
	v_mul_f64_e32 v[54:55], s[26:27], v[52:53]
	v_mul_f64_e32 v[57:58], s[26:27], v[50:51]
	s_mov_b32 s26, 0xc61f0d01
	s_mov_b32 s27, 0xbfd183b1
	s_delay_alu instid0(VALU_DEP_2) | instskip(SKIP_1) | instid1(VALU_DEP_3)
	v_fma_f64 v[50:51], v[50:51], s[24:25], v[54:55]
	v_mad_co_u64_u32 v[54:55], null, 0xc0, s8, v[20:21]
	v_fma_f64 v[52:53], v[52:53], s[24:25], -v[57:58]
	s_mov_b32 s25, 0x3feca52d
	s_mov_b32 s24, s10
	s_delay_alu instid0(VALU_DEP_2) | instskip(NEXT) | instid1(VALU_DEP_1)
	v_mad_co_u64_u32 v[57:58], null, 0xc0, s9, v[55:56]
	v_mov_b32_e32 v55, v57
	global_load_b128 v[57:60], v[54:55], off
	s_wait_loadcnt 0x0
	v_mul_f64_e32 v[54:55], s[54:55], v[59:60]
	v_mul_f64_e32 v[61:62], s[54:55], v[57:58]
	s_delay_alu instid0(VALU_DEP_2) | instskip(SKIP_1) | instid1(VALU_DEP_3)
	v_fma_f64 v[57:58], v[57:58], s[52:53], v[54:55]
	v_mad_co_u64_u32 v[54:55], null, 0xd0, s8, v[20:21]
	v_fma_f64 v[59:60], v[59:60], s[52:53], -v[61:62]
	s_delay_alu instid0(VALU_DEP_2) | instskip(NEXT) | instid1(VALU_DEP_1)
	v_mad_co_u64_u32 v[61:62], null, 0xd0, s9, v[55:56]
	v_mov_b32_e32 v55, v61
	global_load_b128 v[61:64], v[54:55], off
	s_wait_loadcnt 0x0
	v_mul_f64_e32 v[54:55], s[58:59], v[63:64]
	v_mul_f64_e32 v[65:66], s[58:59], v[61:62]
	s_delay_alu instid0(VALU_DEP_2) | instskip(SKIP_1) | instid1(VALU_DEP_3)
	v_fma_f64 v[61:62], v[61:62], s[56:57], v[54:55]
	v_mad_co_u64_u32 v[54:55], null, 0xe0, s8, v[20:21]
	v_fma_f64 v[63:64], v[63:64], s[56:57], -v[65:66]
	v_mad_co_u64_u32 v[20:21], null, 0xf0, s8, v[20:21]
	s_delay_alu instid0(VALU_DEP_3) | instskip(NEXT) | instid1(VALU_DEP_1)
	v_mad_co_u64_u32 v[65:66], null, 0xe0, s9, v[55:56]
	v_mov_b32_e32 v55, v65
	global_load_b128 v[65:68], v[54:55], off
	s_wait_loadcnt 0x0
	v_mul_f64_e32 v[54:55], s[62:63], v[67:68]
	v_mul_f64_e32 v[69:70], s[62:63], v[65:66]
	s_delay_alu instid0(VALU_DEP_2) | instskip(SKIP_1) | instid1(VALU_DEP_3)
	v_fma_f64 v[65:66], v[65:66], s[60:61], v[54:55]
	v_mad_co_u64_u32 v[54:55], null, 0xf0, s9, v[21:22]
	v_fma_f64 v[67:68], v[67:68], s[60:61], -v[69:70]
	s_mov_b32 s8, 0x2a9d6da3
	s_mov_b32 s9, 0xbfe58eea
	s_wait_alu 0xfffe
	s_mov_b32 s40, s8
	s_delay_alu instid0(VALU_DEP_2) | instskip(SKIP_4) | instid1(VALU_DEP_2)
	v_mov_b32_e32 v21, v54
	global_load_b128 v[69:72], v[20:21], off
	s_wait_loadcnt 0x0
	v_mul_f64_e32 v[20:21], s[66:67], v[71:72]
	v_mul_f64_e32 v[54:55], s[66:67], v[69:70]
	v_fma_f64 v[69:70], v[69:70], s[64:65], v[20:21]
	v_mul_hi_u32 v20, 0x88888889, v56
	s_delay_alu instid0(VALU_DEP_3) | instskip(NEXT) | instid1(VALU_DEP_2)
	v_fma_f64 v[71:72], v[71:72], s[64:65], -v[54:55]
	v_lshrrev_b32_e32 v20, 6, v20
	s_delay_alu instid0(VALU_DEP_1) | instskip(NEXT) | instid1(VALU_DEP_1)
	v_mul_lo_u32 v20, 0x78, v20
	v_sub_nc_u32_e32 v20, v56, v20
	s_delay_alu instid0(VALU_DEP_1)
	v_mul_u32_u24_e32 v181, 0x110, v20
	ds_store_b128 v181, v[0:3]
	ds_store_b128 v181, v[4:7] offset:16
	ds_store_b128 v181, v[8:11] offset:32
	;; [unrolled: 1-line block ×8, first 2 shown]
	s_load_b128 s[48:51], s[6:7], 0x0
	ds_store_b128 v181, v[38:41] offset:112
	ds_store_b128 v181, v[42:45] offset:144
	;; [unrolled: 1-line block ×8, first 2 shown]
	global_wb scope:SCOPE_SE
	s_wait_dscnt 0x0
	s_wait_kmcnt 0x0
	s_barrier_signal -1
	s_barrier_wait -1
	global_inv scope:SCOPE_SE
	ds_load_b128 v[0:3], v181
	ds_load_b128 v[4:7], v181 offset:16
	ds_load_b128 v[16:19], v181 offset:32
	;; [unrolled: 1-line block ×3, first 2 shown]
	s_mov_b32 s6, 0x923c349f
	s_mov_b32 s7, 0xbfeec746
	;; [unrolled: 1-line block ×3, first 2 shown]
	ds_load_b128 v[28:31], v181 offset:96
	s_wait_dscnt 0x3
	v_add_f64_e32 v[8:9], v[0:1], v[4:5]
	v_add_f64_e32 v[10:11], v[2:3], v[6:7]
	s_wait_dscnt 0x2
	s_delay_alu instid0(VALU_DEP_2) | instskip(NEXT) | instid1(VALU_DEP_2)
	v_add_f64_e32 v[8:9], v[8:9], v[16:17]
	v_add_f64_e32 v[10:11], v[10:11], v[18:19]
	s_wait_dscnt 0x1
	s_delay_alu instid0(VALU_DEP_2) | instskip(NEXT) | instid1(VALU_DEP_2)
	v_add_f64_e32 v[12:13], v[8:9], v[20:21]
	v_add_f64_e32 v[14:15], v[10:11], v[22:23]
	ds_load_b128 v[8:11], v181 offset:64
	s_wait_dscnt 0x0
	v_add_f64_e32 v[24:25], v[12:13], v[8:9]
	v_add_f64_e32 v[26:27], v[14:15], v[10:11]
	ds_load_b128 v[12:15], v181 offset:80
	s_wait_dscnt 0x0
	v_add_f64_e32 v[24:25], v[24:25], v[12:13]
	v_add_f64_e32 v[26:27], v[26:27], v[14:15]
	s_delay_alu instid0(VALU_DEP_2) | instskip(NEXT) | instid1(VALU_DEP_2)
	v_add_f64_e32 v[32:33], v[24:25], v[28:29]
	v_add_f64_e32 v[34:35], v[26:27], v[30:31]
	ds_load_b128 v[24:27], v181 offset:112
	s_wait_dscnt 0x0
	v_add_f64_e32 v[36:37], v[32:33], v[24:25]
	v_add_f64_e32 v[38:39], v[34:35], v[26:27]
	ds_load_b128 v[32:35], v181 offset:128
	s_wait_dscnt 0x0
	;; [unrolled: 4-line block ×3, first 2 shown]
	v_add_f64_e32 v[57:58], v[32:33], v[36:37]
	v_add_f64_e32 v[59:60], v[34:35], v[38:39]
	v_add_f64_e64 v[113:114], v[32:33], -v[36:37]
	v_add_f64_e64 v[115:116], v[34:35], -v[38:39]
	ds_load_b128 v[32:35], v181 offset:160
	v_add_f64_e32 v[36:37], v[40:41], v[36:37]
	v_add_f64_e32 v[38:39], v[42:43], v[38:39]
	s_wait_dscnt 0x0
	v_add_f64_e32 v[63:64], v[24:25], v[32:33]
	v_add_f64_e32 v[61:62], v[26:27], v[34:35]
	v_add_f64_e64 v[117:118], v[24:25], -v[32:33]
	v_add_f64_e64 v[119:120], v[26:27], -v[34:35]
	ds_load_b128 v[24:27], v181 offset:256
	v_mul_f64_e32 v[200:201], s[44:45], v[115:116]
	v_add_f64_e32 v[73:74], v[36:37], v[32:33]
	s_wait_dscnt 0x0
	v_add_f64_e64 v[32:33], v[6:7], -v[26:27]
	v_add_f64_e32 v[75:76], v[38:39], v[34:35]
	v_add_f64_e32 v[34:35], v[4:5], v[24:25]
	v_add_f64_e64 v[4:5], v[4:5], -v[24:25]
	v_add_f64_e32 v[6:7], v[6:7], v[26:27]
	v_mul_f64_e32 v[198:199], s[24:25], v[117:118]
	v_mul_f64_e32 v[196:197], s[24:25], v[119:120]
	;; [unrolled: 1-line block ×3, first 2 shown]
	s_mov_b32 s2, 0x7c9e640b
	s_mov_b32 s3, 0xbfeca52d
	v_mul_f64_e32 v[36:37], s[4:5], v[32:33]
	s_wait_alu 0xfffe
	v_mul_f64_e32 v[40:41], s[2:3], v[32:33]
	s_mov_b32 s2, 0xeb564b22
	s_mov_b32 s3, 0xbfefdd0d
	;; [unrolled: 1-line block ×3, first 2 shown]
	s_wait_alu 0xfffe
	v_mul_f64_e32 v[42:43], s[2:3], v[32:33]
	s_mov_b32 s2, 0x923c349f
	s_mov_b32 s3, 0xbfeec746
	;; [unrolled: 1-line block ×3, first 2 shown]
	s_wait_alu 0xfffe
	v_mul_f64_e32 v[44:45], s[2:3], v[32:33]
	s_mov_b32 s2, 0x6c9a05f6
	s_mov_b32 s3, 0xbfe9895b
	v_mul_f64_e32 v[65:66], s[14:15], v[4:5]
	s_wait_alu 0xfffe
	v_mul_f64_e32 v[46:47], s[2:3], v[32:33]
	s_mov_b32 s2, 0x4363dd80
	s_mov_b32 s3, 0xbfe0d888
	v_mul_f64_e32 v[67:68], s[12:13], v[4:5]
	s_wait_alu 0xfffe
	v_mul_f64_e32 v[48:49], s[2:3], v[32:33]
	s_mov_b32 s2, 0xacd6c6b4
	s_mov_b32 s3, 0xbfc7851a
	;; [unrolled: 1-line block ×3, first 2 shown]
	s_wait_alu 0xfffe
	v_mul_f64_e32 v[32:33], s[2:3], v[32:33]
	v_fma_f64 v[52:53], v[34:35], s[20:21], -v[38:39]
	v_fma_f64 v[38:39], v[34:35], s[20:21], v[38:39]
	v_fma_f64 v[50:51], v[34:35], s[16:17], -v[36:37]
	v_fma_f64 v[36:37], v[34:35], s[16:17], v[36:37]
	;; [unrolled: 2-line block ×5, first 2 shown]
	v_mul_f64_e32 v[44:45], s[10:11], v[4:5]
	v_fma_f64 v[105:106], v[6:7], s[18:19], v[65:66]
	v_fma_f64 v[79:80], v[34:35], s[18:19], -v[46:47]
	v_fma_f64 v[81:82], v[34:35], s[18:19], v[46:47]
	v_mul_f64_e32 v[46:47], s[4:5], v[4:5]
	v_fma_f64 v[107:108], v[6:7], s[18:19], -v[65:66]
	v_fma_f64 v[83:84], v[34:35], s[34:35], -v[48:49]
	v_fma_f64 v[85:86], v[34:35], s[34:35], v[48:49]
	v_mul_f64_e32 v[48:49], s[6:7], v[4:5]
	v_fma_f64 v[109:110], v[6:7], s[34:35], v[67:68]
	v_fma_f64 v[87:88], v[34:35], s[36:37], -v[32:33]
	v_fma_f64 v[89:90], v[34:35], s[36:37], v[32:33]
	v_mul_f64_e32 v[32:33], s[38:39], v[4:5]
	v_mul_f64_e32 v[34:35], s[8:9], v[4:5]
	v_mul_f64_e32 v[4:5], s[102:103], v[4:5]
	v_fma_f64 v[111:112], v[6:7], s[34:35], -v[67:68]
	v_add_f64_e32 v[179:180], v[0:1], v[52:53]
	v_add_f64_e32 v[175:176], v[0:1], v[38:39]
	v_add_f64_e32 v[169:170], v[0:1], v[50:51]
	v_add_f64_e32 v[67:68], v[0:1], v[36:37]
	v_add_f64_e32 v[38:39], v[0:1], v[54:55]
	v_add_f64_e32 v[42:43], v[0:1], v[42:43]
	v_add_f64_e32 v[50:51], v[0:1], v[71:72]
	v_add_f64_e32 v[54:55], v[0:1], v[77:78]
	v_fma_f64 v[95:96], v[6:7], s[30:31], v[44:45]
	v_fma_f64 v[44:45], v[6:7], s[30:31], -v[44:45]
	v_add_f64_e32 v[167:168], v[0:1], v[79:80]
	v_add_f64_e32 v[165:166], v[2:3], v[105:106]
	v_fma_f64 v[97:98], v[6:7], s[22:23], v[46:47]
	v_fma_f64 v[99:100], v[6:7], s[22:23], -v[46:47]
	v_add_f64_e32 v[46:47], v[0:1], v[69:70]
	v_add_f64_e32 v[163:164], v[0:1], v[81:82]
	;; [unrolled: 4-line block ×3, first 2 shown]
	v_fma_f64 v[91:92], v[6:7], s[16:17], v[32:33]
	v_fma_f64 v[32:33], v[6:7], s[16:17], -v[32:33]
	v_fma_f64 v[93:94], v[6:7], s[20:21], v[34:35]
	v_fma_f64 v[34:35], v[6:7], s[20:21], -v[34:35]
	;; [unrolled: 2-line block ×3, first 2 shown]
	v_add_f64_e32 v[157:158], v[2:3], v[109:110]
	v_add_f64_e32 v[151:152], v[0:1], v[85:86]
	;; [unrolled: 1-line block ×5, first 2 shown]
	v_mul_f64_e32 v[109:110], s[12:13], v[119:120]
	v_mul_f64_e32 v[111:112], s[12:13], v[117:118]
	v_add_f64_e32 v[36:37], v[2:3], v[95:96]
	v_add_f64_e32 v[48:49], v[2:3], v[101:102]
	;; [unrolled: 1-line block ×13, first 2 shown]
	ds_load_b128 v[0:3], v181 offset:176
	ds_load_b128 v[4:7], v181 offset:224
	s_wait_dscnt 0x1
	v_add_f64_e32 v[71:72], v[28:29], v[0:1]
	v_add_f64_e32 v[69:70], v[30:31], v[2:3]
	v_add_f64_e64 v[125:126], v[28:29], -v[0:1]
	v_add_f64_e64 v[127:128], v[30:31], -v[2:3]
	v_add_f64_e32 v[153:154], v[73:74], v[0:1]
	v_add_f64_e32 v[155:156], v[75:76], v[2:3]
	ds_load_b128 v[0:3], v181 offset:240
	s_wait_dscnt 0x1
	v_add_f64_e64 v[145:146], v[22:23], -v[6:7]
	v_add_f64_e32 v[79:80], v[20:21], v[4:5]
	v_add_f64_e64 v[137:138], v[20:21], -v[4:5]
	v_add_f64_e32 v[77:78], v[22:23], v[6:7]
	s_wait_dscnt 0x0
	v_add_f64_e64 v[147:148], v[18:19], -v[2:3]
	v_add_f64_e32 v[73:74], v[16:17], v[0:1]
	v_add_f64_e32 v[75:76], v[18:19], v[2:3]
	v_add_f64_e64 v[139:140], v[16:17], -v[0:1]
	ds_load_b128 v[16:19], v181 offset:208
	v_mul_f64_e32 v[107:108], s[14:15], v[125:126]
	v_mul_f64_e32 v[105:106], s[14:15], v[127:128]
	;; [unrolled: 1-line block ×7, first 2 shown]
	s_wait_dscnt 0x0
	v_add_f64_e32 v[83:84], v[8:9], v[16:17]
	v_add_f64_e32 v[81:82], v[10:11], v[18:19]
	v_add_f64_e64 v[135:136], v[8:9], -v[16:17]
	v_add_f64_e64 v[143:144], v[10:11], -v[18:19]
	ds_load_b128 v[8:11], v181 offset:192
	v_mul_f64_e32 v[89:90], s[8:9], v[147:148]
	v_mul_f64_e32 v[91:92], s[8:9], v[139:140]
	s_wait_dscnt 0x0
	v_add_f64_e32 v[87:88], v[12:13], v[8:9]
	v_add_f64_e64 v[133:134], v[12:13], -v[8:9]
	v_add_f64_e32 v[85:86], v[14:15], v[10:11]
	v_add_f64_e64 v[141:142], v[14:15], -v[10:11]
	v_add_f64_e32 v[153:154], v[153:154], v[8:9]
	v_add_f64_e32 v[155:156], v[155:156], v[10:11]
	v_fma_f64 v[20:21], v[79:80], s[30:31], -v[93:94]
	v_mul_f64_e32 v[99:100], s[4:5], v[135:136]
	v_mul_f64_e32 v[97:98], s[4:5], v[143:144]
	;; [unrolled: 1-line block ×4, first 2 shown]
	v_fma_f64 v[12:13], v[73:74], s[20:21], -v[89:90]
	v_fma_f64 v[14:15], v[75:76], s[20:21], v[91:92]
	v_mul_f64_e32 v[103:104], s[6:7], v[133:134]
	v_mul_f64_e32 v[190:191], s[100:101], v[133:134]
	;; [unrolled: 1-line block ×4, first 2 shown]
	v_add_f64_e32 v[12:13], v[12:13], v[169:170]
	v_mul_f64_e32 v[169:170], s[102:103], v[115:116]
	v_add_f64_e32 v[14:15], v[14:15], v[171:172]
	v_mul_f64_e32 v[171:172], s[102:103], v[113:114]
	s_delay_alu instid0(VALU_DEP_4) | instskip(SKIP_1) | instid1(VALU_DEP_1)
	v_add_f64_e32 v[12:13], v[20:21], v[12:13]
	v_fma_f64 v[20:21], v[77:78], s[30:31], v[95:96]
	v_add_f64_e32 v[14:15], v[20:21], v[14:15]
	v_fma_f64 v[20:21], v[83:84], s[22:23], -v[97:98]
	s_delay_alu instid0(VALU_DEP_1) | instskip(SKIP_1) | instid1(VALU_DEP_1)
	v_add_f64_e32 v[12:13], v[20:21], v[12:13]
	v_fma_f64 v[20:21], v[81:82], s[22:23], v[99:100]
	v_add_f64_e32 v[14:15], v[20:21], v[14:15]
	v_fma_f64 v[20:21], v[87:88], s[26:27], -v[101:102]
	s_delay_alu instid0(VALU_DEP_1) | instskip(SKIP_1) | instid1(VALU_DEP_1)
	;; [unrolled: 5-line block ×5, first 2 shown]
	v_add_f64_e32 v[12:13], v[20:21], v[12:13]
	v_fma_f64 v[20:21], v[59:60], s[36:37], v[171:172]
	v_add_f64_e32 v[14:15], v[20:21], v[14:15]
	v_mul_f64_e32 v[20:21], s[4:5], v[147:148]
	s_delay_alu instid0(VALU_DEP_1) | instskip(SKIP_1) | instid1(VALU_DEP_2)
	v_fma_f64 v[22:23], v[73:74], s[22:23], -v[20:21]
	v_fma_f64 v[20:21], v[73:74], s[22:23], v[20:21]
	v_add_f64_e32 v[22:23], v[22:23], v[179:180]
	v_mul_f64_e32 v[179:180], s[4:5], v[139:140]
	s_delay_alu instid0(VALU_DEP_3) | instskip(NEXT) | instid1(VALU_DEP_2)
	v_add_f64_e32 v[20:21], v[20:21], v[175:176]
	v_fma_f64 v[28:29], v[75:76], s[22:23], v[179:180]
	v_fma_f64 v[175:176], v[75:76], s[22:23], -v[179:180]
	s_delay_alu instid0(VALU_DEP_2) | instskip(SKIP_1) | instid1(VALU_DEP_3)
	v_add_f64_e32 v[28:29], v[28:29], v[177:178]
	v_mul_f64_e32 v[177:178], s[14:15], v[145:146]
	v_add_f64_e32 v[173:174], v[175:176], v[173:174]
	s_delay_alu instid0(VALU_DEP_2) | instskip(SKIP_1) | instid1(VALU_DEP_2)
	v_fma_f64 v[30:31], v[79:80], s[18:19], -v[177:178]
	v_fma_f64 v[175:176], v[79:80], s[18:19], v[177:178]
	v_add_f64_e32 v[22:23], v[30:31], v[22:23]
	v_fma_f64 v[30:31], v[77:78], s[18:19], v[182:183]
	s_delay_alu instid0(VALU_DEP_3) | instskip(SKIP_1) | instid1(VALU_DEP_3)
	v_add_f64_e32 v[20:21], v[175:176], v[20:21]
	v_fma_f64 v[175:176], v[77:78], s[18:19], -v[182:183]
	v_add_f64_e32 v[28:29], v[30:31], v[28:29]
	v_fma_f64 v[30:31], v[83:84], s[36:37], -v[184:185]
	s_delay_alu instid0(VALU_DEP_3) | instskip(SKIP_1) | instid1(VALU_DEP_3)
	v_add_f64_e32 v[173:174], v[175:176], v[173:174]
	v_fma_f64 v[175:176], v[83:84], s[36:37], v[184:185]
	v_add_f64_e32 v[22:23], v[30:31], v[22:23]
	v_fma_f64 v[30:31], v[81:82], s[36:37], v[186:187]
	s_delay_alu instid0(VALU_DEP_3) | instskip(SKIP_1) | instid1(VALU_DEP_3)
	v_add_f64_e32 v[20:21], v[175:176], v[20:21]
	v_fma_f64 v[175:176], v[81:82], s[36:37], -v[186:187]
	v_add_f64_e32 v[28:29], v[30:31], v[28:29]
	v_fma_f64 v[30:31], v[87:88], s[34:35], -v[188:189]
	s_delay_alu instid0(VALU_DEP_3) | instskip(SKIP_1) | instid1(VALU_DEP_3)
	v_add_f64_e32 v[173:174], v[175:176], v[173:174]
	v_fma_f64 v[175:176], v[87:88], s[34:35], v[188:189]
	v_add_f64_e32 v[22:23], v[30:31], v[22:23]
	v_fma_f64 v[30:31], v[85:86], s[34:35], v[190:191]
	s_delay_alu instid0(VALU_DEP_3) | instskip(SKIP_1) | instid1(VALU_DEP_3)
	v_add_f64_e32 v[20:21], v[175:176], v[20:21]
	v_fma_f64 v[175:176], v[85:86], s[34:35], -v[190:191]
	v_add_f64_e32 v[28:29], v[30:31], v[28:29]
	v_fma_f64 v[30:31], v[71:72], s[26:27], -v[192:193]
	s_delay_alu instid0(VALU_DEP_3) | instskip(SKIP_1) | instid1(VALU_DEP_3)
	v_add_f64_e32 v[173:174], v[175:176], v[173:174]
	v_fma_f64 v[175:176], v[71:72], s[26:27], v[192:193]
	v_add_f64_e32 v[22:23], v[30:31], v[22:23]
	v_fma_f64 v[30:31], v[69:70], s[26:27], v[194:195]
	s_delay_alu instid0(VALU_DEP_3) | instskip(SKIP_1) | instid1(VALU_DEP_3)
	v_add_f64_e32 v[20:21], v[175:176], v[20:21]
	v_fma_f64 v[175:176], v[69:70], s[26:27], -v[194:195]
	v_add_f64_e32 v[28:29], v[30:31], v[28:29]
	v_fma_f64 v[30:31], v[63:64], s[30:31], -v[196:197]
	s_delay_alu instid0(VALU_DEP_3) | instskip(SKIP_1) | instid1(VALU_DEP_3)
	v_add_f64_e32 v[173:174], v[175:176], v[173:174]
	v_fma_f64 v[175:176], v[63:64], s[30:31], v[196:197]
	v_add_f64_e32 v[22:23], v[30:31], v[22:23]
	v_fma_f64 v[30:31], v[61:62], s[30:31], v[198:199]
	s_delay_alu instid0(VALU_DEP_3) | instskip(SKIP_1) | instid1(VALU_DEP_3)
	v_add_f64_e32 v[20:21], v[175:176], v[20:21]
	v_fma_f64 v[175:176], v[61:62], s[30:31], -v[198:199]
	v_add_f64_e32 v[30:31], v[30:31], v[28:29]
	v_fma_f64 v[28:29], v[57:58], s[16:17], -v[200:201]
	s_delay_alu instid0(VALU_DEP_3) | instskip(SKIP_2) | instid1(VALU_DEP_4)
	v_add_f64_e32 v[173:174], v[175:176], v[173:174]
	v_fma_f64 v[175:176], v[57:58], s[16:17], v[200:201]
	v_mul_f64_e32 v[200:201], s[12:13], v[115:116]
	v_add_f64_e32 v[28:29], v[28:29], v[22:23]
	v_mul_f64_e32 v[22:23], s[44:45], v[113:114]
	s_delay_alu instid0(VALU_DEP_4) | instskip(NEXT) | instid1(VALU_DEP_2)
	v_add_f64_e32 v[20:21], v[175:176], v[20:21]
	v_fma_f64 v[202:203], v[59:60], s[16:17], v[22:23]
	v_fma_f64 v[22:23], v[59:60], s[16:17], -v[22:23]
	s_delay_alu instid0(VALU_DEP_2) | instskip(NEXT) | instid1(VALU_DEP_2)
	v_add_f64_e32 v[30:31], v[202:203], v[30:31]
	v_add_f64_e32 v[22:23], v[22:23], v[173:174]
	v_mul_f64_e32 v[173:174], s[14:15], v[147:148]
	v_mul_f64_e32 v[202:203], s[12:13], v[113:114]
	s_delay_alu instid0(VALU_DEP_2) | instskip(SKIP_1) | instid1(VALU_DEP_2)
	v_fma_f64 v[175:176], v[73:74], s[18:19], -v[173:174]
	v_fma_f64 v[173:174], v[73:74], s[18:19], v[173:174]
	v_add_f64_e32 v[38:39], v[175:176], v[38:39]
	v_mul_f64_e32 v[175:176], s[14:15], v[139:140]
	s_delay_alu instid0(VALU_DEP_3) | instskip(NEXT) | instid1(VALU_DEP_2)
	v_add_f64_e32 v[34:35], v[173:174], v[34:35]
	v_fma_f64 v[177:178], v[75:76], s[18:19], v[175:176]
	v_fma_f64 v[173:174], v[75:76], s[18:19], -v[175:176]
	v_fma_f64 v[175:176], v[59:60], s[34:35], -v[202:203]
	s_delay_alu instid0(VALU_DEP_3) | instskip(SKIP_1) | instid1(VALU_DEP_4)
	v_add_f64_e32 v[36:37], v[177:178], v[36:37]
	v_mul_f64_e32 v[177:178], vcc, v[145:146]
	v_add_f64_e32 v[32:33], v[173:174], v[32:33]
	s_delay_alu instid0(VALU_DEP_2) | instskip(SKIP_1) | instid1(VALU_DEP_2)
	v_fma_f64 v[179:180], v[79:80], s[36:37], -v[177:178]
	v_fma_f64 v[173:174], v[79:80], s[36:37], v[177:178]
	v_add_f64_e32 v[38:39], v[179:180], v[38:39]
	v_mul_f64_e32 v[179:180], vcc, v[137:138]
	s_delay_alu instid0(VALU_DEP_3) | instskip(NEXT) | instid1(VALU_DEP_2)
	v_add_f64_e32 v[34:35], v[173:174], v[34:35]
	v_fma_f64 v[182:183], v[77:78], s[36:37], v[179:180]
	v_fma_f64 v[173:174], v[77:78], s[36:37], -v[179:180]
	s_delay_alu instid0(VALU_DEP_2) | instskip(SKIP_1) | instid1(VALU_DEP_3)
	v_add_f64_e32 v[36:37], v[182:183], v[36:37]
	v_mul_f64_e32 v[182:183], s[28:29], v[143:144]
	v_add_f64_e32 v[32:33], v[173:174], v[32:33]
	s_delay_alu instid0(VALU_DEP_2) | instskip(SKIP_1) | instid1(VALU_DEP_2)
	v_fma_f64 v[184:185], v[83:84], s[26:27], -v[182:183]
	v_fma_f64 v[173:174], v[83:84], s[26:27], v[182:183]
	v_add_f64_e32 v[38:39], v[184:185], v[38:39]
	v_mul_f64_e32 v[184:185], s[28:29], v[135:136]
	s_delay_alu instid0(VALU_DEP_3) | instskip(NEXT) | instid1(VALU_DEP_2)
	v_add_f64_e32 v[34:35], v[173:174], v[34:35]
	v_fma_f64 v[186:187], v[81:82], s[26:27], v[184:185]
	v_fma_f64 v[173:174], v[81:82], s[26:27], -v[184:185]
	s_delay_alu instid0(VALU_DEP_2) | instskip(SKIP_1) | instid1(VALU_DEP_3)
	v_add_f64_e32 v[36:37], v[186:187], v[36:37]
	v_mul_f64_e32 v[186:187], s[40:41], v[141:142]
	v_add_f64_e32 v[32:33], v[173:174], v[32:33]
	s_delay_alu instid0(VALU_DEP_2) | instskip(SKIP_1) | instid1(VALU_DEP_2)
	v_fma_f64 v[188:189], v[87:88], s[20:21], -v[186:187]
	v_fma_f64 v[173:174], v[87:88], s[20:21], v[186:187]
	v_add_f64_e32 v[38:39], v[188:189], v[38:39]
	v_mul_f64_e32 v[188:189], s[40:41], v[133:134]
	;; [unrolled: 13-line block ×4, first 2 shown]
	s_delay_alu instid0(VALU_DEP_3) | instskip(NEXT) | instid1(VALU_DEP_2)
	v_add_f64_e32 v[34:35], v[173:174], v[34:35]
	v_fma_f64 v[173:174], v[61:62], s[22:23], -v[196:197]
	v_fma_f64 v[198:199], v[61:62], s[22:23], v[196:197]
	s_delay_alu instid0(VALU_DEP_2) | instskip(SKIP_1) | instid1(VALU_DEP_3)
	v_add_f64_e32 v[173:174], v[173:174], v[32:33]
	v_fma_f64 v[32:33], v[57:58], s[34:35], v[200:201]
	v_add_f64_e32 v[198:199], v[198:199], v[36:37]
	v_fma_f64 v[36:37], v[57:58], s[34:35], -v[200:201]
	v_mul_f64_e32 v[200:201], s[40:41], v[115:116]
	s_delay_alu instid0(VALU_DEP_4)
	v_add_f64_e32 v[32:33], v[32:33], v[34:35]
	v_add_f64_e32 v[34:35], v[175:176], v[173:174]
	v_mul_f64_e32 v[173:174], s[102:103], v[147:148]
	v_add_f64_e32 v[36:37], v[36:37], v[38:39]
	v_fma_f64 v[38:39], v[59:60], s[34:35], v[202:203]
	v_mul_f64_e32 v[202:203], s[40:41], v[113:114]
	s_delay_alu instid0(VALU_DEP_4) | instskip(SKIP_1) | instid1(VALU_DEP_4)
	v_fma_f64 v[175:176], v[73:74], s[36:37], -v[173:174]
	v_fma_f64 v[173:174], v[73:74], s[36:37], v[173:174]
	v_add_f64_e32 v[38:39], v[38:39], v[198:199]
	s_delay_alu instid0(VALU_DEP_3) | instskip(SKIP_1) | instid1(VALU_DEP_4)
	v_add_f64_e32 v[46:47], v[175:176], v[46:47]
	v_mul_f64_e32 v[175:176], s[102:103], v[139:140]
	v_add_f64_e32 v[42:43], v[173:174], v[42:43]
	s_delay_alu instid0(VALU_DEP_2) | instskip(SKIP_2) | instid1(VALU_DEP_3)
	v_fma_f64 v[177:178], v[75:76], s[36:37], v[175:176]
	v_fma_f64 v[173:174], v[75:76], s[36:37], -v[175:176]
	v_fma_f64 v[175:176], v[59:60], s[20:21], -v[202:203]
	v_add_f64_e32 v[44:45], v[177:178], v[44:45]
	v_mul_f64_e32 v[177:178], s[28:29], v[145:146]
	s_delay_alu instid0(VALU_DEP_4) | instskip(NEXT) | instid1(VALU_DEP_2)
	v_add_f64_e32 v[40:41], v[173:174], v[40:41]
	v_fma_f64 v[179:180], v[79:80], s[26:27], -v[177:178]
	v_fma_f64 v[173:174], v[79:80], s[26:27], v[177:178]
	s_delay_alu instid0(VALU_DEP_2) | instskip(SKIP_1) | instid1(VALU_DEP_3)
	v_add_f64_e32 v[46:47], v[179:180], v[46:47]
	v_mul_f64_e32 v[179:180], s[28:29], v[137:138]
	v_add_f64_e32 v[42:43], v[173:174], v[42:43]
	s_delay_alu instid0(VALU_DEP_2) | instskip(SKIP_1) | instid1(VALU_DEP_2)
	v_fma_f64 v[182:183], v[77:78], s[26:27], v[179:180]
	v_fma_f64 v[173:174], v[77:78], s[26:27], -v[179:180]
	v_add_f64_e32 v[44:45], v[182:183], v[44:45]
	v_mul_f64_e32 v[182:183], s[44:45], v[143:144]
	s_delay_alu instid0(VALU_DEP_3) | instskip(NEXT) | instid1(VALU_DEP_2)
	v_add_f64_e32 v[40:41], v[173:174], v[40:41]
	v_fma_f64 v[184:185], v[83:84], s[16:17], -v[182:183]
	v_fma_f64 v[173:174], v[83:84], s[16:17], v[182:183]
	s_delay_alu instid0(VALU_DEP_2) | instskip(SKIP_1) | instid1(VALU_DEP_3)
	v_add_f64_e32 v[46:47], v[184:185], v[46:47]
	v_mul_f64_e32 v[184:185], s[44:45], v[135:136]
	v_add_f64_e32 v[42:43], v[173:174], v[42:43]
	s_delay_alu instid0(VALU_DEP_2) | instskip(SKIP_1) | instid1(VALU_DEP_2)
	v_fma_f64 v[186:187], v[81:82], s[16:17], v[184:185]
	v_fma_f64 v[173:174], v[81:82], s[16:17], -v[184:185]
	v_add_f64_e32 v[44:45], v[186:187], v[44:45]
	v_mul_f64_e32 v[186:187], s[10:11], v[141:142]
	s_delay_alu instid0(VALU_DEP_3) | instskip(NEXT) | instid1(VALU_DEP_2)
	;; [unrolled: 13-line block ×4, first 2 shown]
	v_add_f64_e32 v[40:41], v[173:174], v[40:41]
	v_fma_f64 v[196:197], v[63:64], s[18:19], -v[194:195]
	v_fma_f64 v[173:174], v[63:64], s[18:19], v[194:195]
	s_delay_alu instid0(VALU_DEP_2) | instskip(SKIP_1) | instid1(VALU_DEP_3)
	v_add_f64_e32 v[46:47], v[196:197], v[46:47]
	v_mul_f64_e32 v[196:197], s[46:47], v[117:118]
	v_add_f64_e32 v[42:43], v[173:174], v[42:43]
	s_delay_alu instid0(VALU_DEP_2) | instskip(SKIP_1) | instid1(VALU_DEP_2)
	v_fma_f64 v[173:174], v[61:62], s[18:19], -v[196:197]
	v_fma_f64 v[198:199], v[61:62], s[18:19], v[196:197]
	v_add_f64_e32 v[173:174], v[173:174], v[40:41]
	v_fma_f64 v[40:41], v[57:58], s[20:21], v[200:201]
	s_delay_alu instid0(VALU_DEP_3) | instskip(SKIP_2) | instid1(VALU_DEP_4)
	v_add_f64_e32 v[198:199], v[198:199], v[44:45]
	v_fma_f64 v[44:45], v[57:58], s[20:21], -v[200:201]
	v_mul_f64_e32 v[200:201], s[14:15], v[115:116]
	v_add_f64_e32 v[40:41], v[40:41], v[42:43]
	v_add_f64_e32 v[42:43], v[175:176], v[173:174]
	v_mul_f64_e32 v[173:174], s[100:101], v[147:148]
	v_add_f64_e32 v[44:45], v[44:45], v[46:47]
	v_fma_f64 v[46:47], v[59:60], s[20:21], v[202:203]
	v_mul_f64_e32 v[202:203], s[14:15], v[113:114]
	s_delay_alu instid0(VALU_DEP_4) | instskip(SKIP_1) | instid1(VALU_DEP_4)
	v_fma_f64 v[175:176], v[73:74], s[34:35], -v[173:174]
	v_fma_f64 v[173:174], v[73:74], s[34:35], v[173:174]
	v_add_f64_e32 v[46:47], v[46:47], v[198:199]
	s_delay_alu instid0(VALU_DEP_3) | instskip(SKIP_1) | instid1(VALU_DEP_4)
	v_add_f64_e32 v[50:51], v[175:176], v[50:51]
	v_mul_f64_e32 v[175:176], s[100:101], v[139:140]
	v_add_f64_e32 v[54:55], v[173:174], v[54:55]
	s_delay_alu instid0(VALU_DEP_2) | instskip(SKIP_2) | instid1(VALU_DEP_3)
	v_fma_f64 v[177:178], v[75:76], s[34:35], v[175:176]
	v_fma_f64 v[173:174], v[75:76], s[34:35], -v[175:176]
	v_fma_f64 v[175:176], v[59:60], s[18:19], -v[202:203]
	v_add_f64_e32 v[48:49], v[177:178], v[48:49]
	v_mul_f64_e32 v[177:178], s[40:41], v[145:146]
	s_delay_alu instid0(VALU_DEP_4) | instskip(NEXT) | instid1(VALU_DEP_2)
	v_add_f64_e32 v[52:53], v[173:174], v[52:53]
	v_fma_f64 v[179:180], v[79:80], s[20:21], -v[177:178]
	v_fma_f64 v[173:174], v[79:80], s[20:21], v[177:178]
	s_delay_alu instid0(VALU_DEP_2) | instskip(SKIP_1) | instid1(VALU_DEP_3)
	v_add_f64_e32 v[50:51], v[179:180], v[50:51]
	v_mul_f64_e32 v[179:180], s[40:41], v[137:138]
	v_add_f64_e32 v[54:55], v[173:174], v[54:55]
	s_delay_alu instid0(VALU_DEP_2) | instskip(SKIP_1) | instid1(VALU_DEP_2)
	v_fma_f64 v[182:183], v[77:78], s[20:21], v[179:180]
	v_fma_f64 v[173:174], v[77:78], s[20:21], -v[179:180]
	v_add_f64_e32 v[48:49], v[182:183], v[48:49]
	v_mul_f64_e32 v[182:183], s[10:11], v[143:144]
	s_delay_alu instid0(VALU_DEP_3) | instskip(NEXT) | instid1(VALU_DEP_2)
	v_add_f64_e32 v[52:53], v[173:174], v[52:53]
	v_fma_f64 v[184:185], v[83:84], s[30:31], -v[182:183]
	v_fma_f64 v[173:174], v[83:84], s[30:31], v[182:183]
	s_delay_alu instid0(VALU_DEP_2) | instskip(SKIP_1) | instid1(VALU_DEP_3)
	v_add_f64_e32 v[50:51], v[184:185], v[50:51]
	v_mul_f64_e32 v[184:185], s[10:11], v[135:136]
	v_add_f64_e32 v[54:55], v[173:174], v[54:55]
	s_delay_alu instid0(VALU_DEP_2) | instskip(SKIP_1) | instid1(VALU_DEP_2)
	v_fma_f64 v[186:187], v[81:82], s[30:31], v[184:185]
	v_fma_f64 v[173:174], v[81:82], s[30:31], -v[184:185]
	v_add_f64_e32 v[48:49], v[186:187], v[48:49]
	v_mul_f64_e32 v[186:187], s[102:103], v[141:142]
	s_delay_alu instid0(VALU_DEP_3) | instskip(NEXT) | instid1(VALU_DEP_2)
	;; [unrolled: 13-line block ×4, first 2 shown]
	v_add_f64_e32 v[52:53], v[173:174], v[52:53]
	v_fma_f64 v[196:197], v[63:64], s[16:17], -v[194:195]
	v_fma_f64 v[173:174], v[63:64], s[16:17], v[194:195]
	s_delay_alu instid0(VALU_DEP_2) | instskip(SKIP_1) | instid1(VALU_DEP_3)
	v_add_f64_e32 v[50:51], v[196:197], v[50:51]
	v_mul_f64_e32 v[196:197], s[38:39], v[117:118]
	v_add_f64_e32 v[54:55], v[173:174], v[54:55]
	s_delay_alu instid0(VALU_DEP_2) | instskip(SKIP_1) | instid1(VALU_DEP_2)
	v_fma_f64 v[173:174], v[61:62], s[16:17], -v[196:197]
	v_fma_f64 v[198:199], v[61:62], s[16:17], v[196:197]
	v_add_f64_e32 v[173:174], v[173:174], v[52:53]
	v_fma_f64 v[52:53], v[57:58], s[18:19], v[200:201]
	s_delay_alu instid0(VALU_DEP_3) | instskip(SKIP_2) | instid1(VALU_DEP_4)
	v_add_f64_e32 v[198:199], v[198:199], v[48:49]
	v_fma_f64 v[48:49], v[57:58], s[18:19], -v[200:201]
	v_mul_f64_e32 v[200:201], s[24:25], v[115:116]
	v_add_f64_e32 v[52:53], v[52:53], v[54:55]
	v_add_f64_e32 v[54:55], v[175:176], v[173:174]
	v_mul_f64_e32 v[173:174], s[28:29], v[147:148]
	v_add_f64_e32 v[48:49], v[48:49], v[50:51]
	v_fma_f64 v[50:51], v[59:60], s[18:19], v[202:203]
	v_mul_f64_e32 v[202:203], s[24:25], v[113:114]
	s_delay_alu instid0(VALU_DEP_4) | instskip(SKIP_1) | instid1(VALU_DEP_4)
	v_fma_f64 v[175:176], v[73:74], s[26:27], -v[173:174]
	v_fma_f64 v[173:174], v[73:74], s[26:27], v[173:174]
	v_add_f64_e32 v[50:51], v[50:51], v[198:199]
	s_delay_alu instid0(VALU_DEP_3) | instskip(SKIP_1) | instid1(VALU_DEP_4)
	v_add_f64_e32 v[167:168], v[175:176], v[167:168]
	v_mul_f64_e32 v[175:176], s[28:29], v[139:140]
	v_add_f64_e32 v[163:164], v[173:174], v[163:164]
	s_delay_alu instid0(VALU_DEP_2) | instskip(SKIP_2) | instid1(VALU_DEP_3)
	v_fma_f64 v[177:178], v[75:76], s[26:27], v[175:176]
	v_fma_f64 v[173:174], v[75:76], s[26:27], -v[175:176]
	v_fma_f64 v[175:176], v[59:60], s[30:31], -v[202:203]
	v_add_f64_e32 v[165:166], v[177:178], v[165:166]
	v_mul_f64_e32 v[177:178], s[38:39], v[145:146]
	s_delay_alu instid0(VALU_DEP_4) | instskip(NEXT) | instid1(VALU_DEP_2)
	v_add_f64_e32 v[161:162], v[173:174], v[161:162]
	v_fma_f64 v[179:180], v[79:80], s[16:17], -v[177:178]
	v_fma_f64 v[173:174], v[79:80], s[16:17], v[177:178]
	s_delay_alu instid0(VALU_DEP_2) | instskip(SKIP_1) | instid1(VALU_DEP_3)
	v_add_f64_e32 v[167:168], v[179:180], v[167:168]
	v_mul_f64_e32 v[179:180], s[38:39], v[137:138]
	v_add_f64_e32 v[163:164], v[173:174], v[163:164]
	s_delay_alu instid0(VALU_DEP_2) | instskip(SKIP_1) | instid1(VALU_DEP_2)
	v_fma_f64 v[182:183], v[77:78], s[16:17], v[179:180]
	v_fma_f64 v[173:174], v[77:78], s[16:17], -v[179:180]
	v_add_f64_e32 v[165:166], v[182:183], v[165:166]
	v_mul_f64_e32 v[182:183], s[12:13], v[143:144]
	s_delay_alu instid0(VALU_DEP_3) | instskip(NEXT) | instid1(VALU_DEP_2)
	v_add_f64_e32 v[161:162], v[173:174], v[161:162]
	v_fma_f64 v[184:185], v[83:84], s[34:35], -v[182:183]
	v_fma_f64 v[173:174], v[83:84], s[34:35], v[182:183]
	s_delay_alu instid0(VALU_DEP_2) | instskip(SKIP_1) | instid1(VALU_DEP_3)
	v_add_f64_e32 v[167:168], v[184:185], v[167:168]
	v_mul_f64_e32 v[184:185], s[12:13], v[135:136]
	v_add_f64_e32 v[163:164], v[173:174], v[163:164]
	s_delay_alu instid0(VALU_DEP_2) | instskip(SKIP_1) | instid1(VALU_DEP_2)
	v_fma_f64 v[186:187], v[81:82], s[34:35], v[184:185]
	v_fma_f64 v[173:174], v[81:82], s[34:35], -v[184:185]
	v_add_f64_e32 v[165:166], v[186:187], v[165:166]
	v_mul_f64_e32 v[186:187], s[42:43], v[141:142]
	s_delay_alu instid0(VALU_DEP_3) | instskip(NEXT) | instid1(VALU_DEP_2)
	;; [unrolled: 13-line block ×4, first 2 shown]
	v_add_f64_e32 v[161:162], v[173:174], v[161:162]
	v_fma_f64 v[196:197], v[63:64], s[36:37], -v[194:195]
	v_fma_f64 v[173:174], v[63:64], s[36:37], v[194:195]
	s_delay_alu instid0(VALU_DEP_2) | instskip(SKIP_1) | instid1(VALU_DEP_3)
	v_add_f64_e32 v[167:168], v[196:197], v[167:168]
	v_mul_f64_e32 v[196:197], s[102:103], v[117:118]
	v_add_f64_e32 v[163:164], v[173:174], v[163:164]
	s_delay_alu instid0(VALU_DEP_2) | instskip(SKIP_1) | instid1(VALU_DEP_2)
	v_fma_f64 v[173:174], v[61:62], s[36:37], -v[196:197]
	v_fma_f64 v[198:199], v[61:62], s[36:37], v[196:197]
	v_add_f64_e32 v[173:174], v[173:174], v[161:162]
	v_fma_f64 v[161:162], v[57:58], s[30:31], v[200:201]
	s_delay_alu instid0(VALU_DEP_3)
	v_add_f64_e32 v[198:199], v[198:199], v[165:166]
	v_fma_f64 v[165:166], v[57:58], s[30:31], -v[200:201]
	v_mul_f64_e32 v[200:201], s[6:7], v[115:116]
	v_mul_f64_e32 v[115:116], s[42:43], v[115:116]
	v_add_f64_e32 v[161:162], v[161:162], v[163:164]
	v_add_f64_e32 v[163:164], v[175:176], v[173:174]
	v_mul_f64_e32 v[173:174], s[24:25], v[147:148]
	v_mul_f64_e32 v[147:148], s[44:45], v[147:148]
	v_add_f64_e32 v[165:166], v[165:166], v[167:168]
	v_fma_f64 v[167:168], v[59:60], s[30:31], v[202:203]
	v_mul_f64_e32 v[202:203], s[6:7], v[113:114]
	v_mul_f64_e32 v[113:114], s[42:43], v[113:114]
	v_fma_f64 v[175:176], v[73:74], s[30:31], -v[173:174]
	v_fma_f64 v[8:9], v[73:74], s[30:31], v[173:174]
	v_add_f64_e32 v[167:168], v[167:168], v[198:199]
	s_delay_alu instid0(VALU_DEP_3) | instskip(SKIP_1) | instid1(VALU_DEP_4)
	v_add_f64_e32 v[159:160], v[175:176], v[159:160]
	v_mul_f64_e32 v[175:176], s[24:25], v[139:140]
	v_add_f64_e32 v[8:9], v[8:9], v[151:152]
	v_fma_f64 v[151:152], v[59:60], s[26:27], -v[202:203]
	s_delay_alu instid0(VALU_DEP_3) | instskip(SKIP_1) | instid1(VALU_DEP_2)
	v_fma_f64 v[177:178], v[75:76], s[30:31], v[175:176]
	v_fma_f64 v[10:11], v[75:76], s[30:31], -v[175:176]
	v_add_f64_e32 v[157:158], v[177:178], v[157:158]
	v_mul_f64_e32 v[177:178], s[4:5], v[145:146]
	s_delay_alu instid0(VALU_DEP_3) | instskip(NEXT) | instid1(VALU_DEP_2)
	v_add_f64_e32 v[10:11], v[10:11], v[149:150]
	v_fma_f64 v[179:180], v[79:80], s[22:23], -v[177:178]
	v_fma_f64 v[149:150], v[79:80], s[22:23], v[177:178]
	s_delay_alu instid0(VALU_DEP_2) | instskip(SKIP_1) | instid1(VALU_DEP_3)
	v_add_f64_e32 v[159:160], v[179:180], v[159:160]
	v_mul_f64_e32 v[179:180], s[4:5], v[137:138]
	v_add_f64_e32 v[8:9], v[149:150], v[8:9]
	v_mul_f64_e32 v[137:138], s[12:13], v[137:138]
	s_delay_alu instid0(VALU_DEP_3) | instskip(SKIP_1) | instid1(VALU_DEP_2)
	v_fma_f64 v[182:183], v[77:78], s[22:23], v[179:180]
	v_fma_f64 v[149:150], v[77:78], s[22:23], -v[179:180]
	v_add_f64_e32 v[157:158], v[182:183], v[157:158]
	v_mul_f64_e32 v[182:183], s[46:47], v[143:144]
	s_delay_alu instid0(VALU_DEP_3) | instskip(NEXT) | instid1(VALU_DEP_2)
	v_add_f64_e32 v[10:11], v[149:150], v[10:11]
	v_fma_f64 v[184:185], v[83:84], s[18:19], -v[182:183]
	v_fma_f64 v[149:150], v[83:84], s[18:19], v[182:183]
	s_delay_alu instid0(VALU_DEP_2) | instskip(SKIP_1) | instid1(VALU_DEP_3)
	v_add_f64_e32 v[159:160], v[184:185], v[159:160]
	v_mul_f64_e32 v[184:185], s[46:47], v[135:136]
	v_add_f64_e32 v[8:9], v[149:150], v[8:9]
	v_mul_f64_e32 v[135:136], s[40:41], v[135:136]
	s_delay_alu instid0(VALU_DEP_3) | instskip(SKIP_1) | instid1(VALU_DEP_2)
	v_fma_f64 v[186:187], v[81:82], s[18:19], v[184:185]
	v_fma_f64 v[149:150], v[81:82], s[18:19], -v[184:185]
	v_add_f64_e32 v[157:158], v[186:187], v[157:158]
	v_mul_f64_e32 v[186:187], s[38:39], v[141:142]
	s_delay_alu instid0(VALU_DEP_3) | instskip(SKIP_1) | instid1(VALU_DEP_3)
	v_add_f64_e32 v[10:11], v[149:150], v[10:11]
	v_mul_f64_e32 v[141:142], s[14:15], v[141:142]
	v_fma_f64 v[188:189], v[87:88], s[16:17], -v[186:187]
	v_fma_f64 v[149:150], v[87:88], s[16:17], v[186:187]
	s_delay_alu instid0(VALU_DEP_2) | instskip(SKIP_1) | instid1(VALU_DEP_3)
	v_add_f64_e32 v[159:160], v[188:189], v[159:160]
	v_mul_f64_e32 v[188:189], s[38:39], v[133:134]
	v_add_f64_e32 v[8:9], v[149:150], v[8:9]
	v_mul_f64_e32 v[133:134], s[14:15], v[133:134]
	v_readlane_b32 s38, v235, 0
	v_readlane_b32 s39, v235, 1
	v_fma_f64 v[190:191], v[85:86], s[16:17], v[188:189]
	v_fma_f64 v[149:150], v[85:86], s[16:17], -v[188:189]
	s_delay_alu instid0(VALU_DEP_2) | instskip(SKIP_1) | instid1(VALU_DEP_3)
	v_add_f64_e32 v[157:158], v[190:191], v[157:158]
	v_mul_f64_e32 v[190:191], s[102:103], v[127:128]
	v_add_f64_e32 v[10:11], v[149:150], v[10:11]
	v_mul_f64_e32 v[127:128], s[24:25], v[127:128]
	s_delay_alu instid0(VALU_DEP_3) | instskip(SKIP_1) | instid1(VALU_DEP_2)
	v_fma_f64 v[192:193], v[71:72], s[36:37], -v[190:191]
	v_fma_f64 v[149:150], v[71:72], s[36:37], v[190:191]
	v_add_f64_e32 v[159:160], v[192:193], v[159:160]
	v_mul_f64_e32 v[192:193], s[102:103], v[125:126]
	s_delay_alu instid0(VALU_DEP_3) | instskip(SKIP_1) | instid1(VALU_DEP_3)
	v_add_f64_e32 v[8:9], v[149:150], v[8:9]
	v_mul_f64_e32 v[125:126], s[24:25], v[125:126]
	v_fma_f64 v[194:195], v[69:70], s[36:37], v[192:193]
	v_fma_f64 v[149:150], v[69:70], s[36:37], -v[192:193]
	s_delay_alu instid0(VALU_DEP_2) | instskip(SKIP_1) | instid1(VALU_DEP_3)
	v_add_f64_e32 v[157:158], v[194:195], v[157:158]
	v_mul_f64_e32 v[194:195], s[40:41], v[119:120]
	v_add_f64_e32 v[10:11], v[149:150], v[10:11]
	v_mul_f64_e32 v[119:120], s[6:7], v[119:120]
	s_delay_alu instid0(VALU_DEP_3) | instskip(SKIP_1) | instid1(VALU_DEP_2)
	v_fma_f64 v[196:197], v[63:64], s[20:21], -v[194:195]
	v_fma_f64 v[149:150], v[63:64], s[20:21], v[194:195]
	v_add_f64_e32 v[159:160], v[196:197], v[159:160]
	v_mul_f64_e32 v[196:197], s[40:41], v[117:118]
	s_delay_alu instid0(VALU_DEP_3) | instskip(SKIP_1) | instid1(VALU_DEP_3)
	v_add_f64_e32 v[8:9], v[149:150], v[8:9]
	v_mul_f64_e32 v[117:118], s[6:7], v[117:118]
	v_fma_f64 v[149:150], v[61:62], s[20:21], -v[196:197]
	v_fma_f64 v[198:199], v[61:62], s[20:21], v[196:197]
	s_delay_alu instid0(VALU_DEP_2) | instskip(SKIP_1) | instid1(VALU_DEP_3)
	v_add_f64_e32 v[10:11], v[149:150], v[10:11]
	v_fma_f64 v[149:150], v[57:58], s[26:27], v[200:201]
	v_add_f64_e32 v[198:199], v[198:199], v[157:158]
	v_fma_f64 v[157:158], v[57:58], s[26:27], -v[200:201]
	s_delay_alu instid0(VALU_DEP_4) | instskip(NEXT) | instid1(VALU_DEP_4)
	v_add_f64_e32 v[10:11], v[151:152], v[10:11]
	v_add_f64_e32 v[8:9], v[149:150], v[8:9]
	;; [unrolled: 1-line block ×3, first 2 shown]
	v_fma_f64 v[16:17], v[73:74], s[16:17], -v[147:148]
	v_add_f64_e32 v[151:152], v[155:156], v[18:19]
	v_add_f64_e32 v[157:158], v[157:158], v[159:160]
	v_fma_f64 v[159:160], v[59:60], s[26:27], v[202:203]
	s_delay_alu instid0(VALU_DEP_4) | instskip(SKIP_1) | instid1(VALU_DEP_3)
	v_add_f64_e32 v[16:17], v[16:17], v[131:132]
	v_mul_f64_e32 v[131:132], s[44:45], v[139:140]
	v_add_f64_e32 v[159:160], v[159:160], v[198:199]
	s_delay_alu instid0(VALU_DEP_2) | instskip(NEXT) | instid1(VALU_DEP_1)
	v_fma_f64 v[18:19], v[75:76], s[16:17], v[131:132]
	v_add_f64_e32 v[18:19], v[18:19], v[129:130]
	v_mul_f64_e32 v[129:130], s[12:13], v[145:146]
	v_add_f64_e32 v[145:146], v[151:152], v[6:7]
	v_fma_f64 v[6:7], v[75:76], s[16:17], -v[131:132]
	v_fma_f64 v[75:76], v[75:76], s[20:21], -v[91:92]
	s_delay_alu instid0(VALU_DEP_4) | instskip(NEXT) | instid1(VALU_DEP_4)
	v_fma_f64 v[139:140], v[79:80], s[34:35], -v[129:130]
	v_add_f64_e32 v[2:3], v[145:146], v[2:3]
	s_delay_alu instid0(VALU_DEP_4)
	v_add_f64_e32 v[6:7], v[6:7], v[121:122]
	v_fma_f64 v[121:122], v[79:80], s[34:35], v[129:130]
	v_fma_f64 v[79:80], v[79:80], s[30:31], v[93:94]
	v_add_f64_e32 v[65:66], v[75:76], v[65:66]
	v_fma_f64 v[75:76], v[83:84], s[22:23], v[97:98]
	v_add_f64_e32 v[16:17], v[139:140], v[16:17]
	;; [unrolled: 2-line block ×3, first 2 shown]
	s_delay_alu instid0(VALU_DEP_2) | instskip(SKIP_1) | instid1(VALU_DEP_1)
	v_add_f64_e32 v[18:19], v[139:140], v[18:19]
	v_mul_f64_e32 v[139:140], s[40:41], v[143:144]
	v_fma_f64 v[143:144], v[83:84], s[20:21], -v[139:140]
	s_delay_alu instid0(VALU_DEP_1) | instskip(SKIP_1) | instid1(VALU_DEP_1)
	v_add_f64_e32 v[16:17], v[143:144], v[16:17]
	v_fma_f64 v[143:144], v[81:82], s[20:21], v[135:136]
	v_add_f64_e32 v[18:19], v[143:144], v[18:19]
	v_fma_f64 v[143:144], v[87:88], s[18:19], -v[141:142]
	s_delay_alu instid0(VALU_DEP_1) | instskip(SKIP_1) | instid1(VALU_DEP_1)
	v_add_f64_e32 v[16:17], v[143:144], v[16:17]
	v_fma_f64 v[143:144], v[85:86], s[18:19], v[133:134]
	v_add_f64_e32 v[18:19], v[143:144], v[18:19]
	;; [unrolled: 5-line block ×3, first 2 shown]
	v_fma_f64 v[143:144], v[63:64], s[26:27], -v[119:120]
	v_fma_f64 v[119:120], v[63:64], s[26:27], v[119:120]
	v_fma_f64 v[63:64], v[63:64], s[34:35], v[109:110]
	s_delay_alu instid0(VALU_DEP_3) | instskip(SKIP_3) | instid1(VALU_DEP_3)
	v_add_f64_e32 v[16:17], v[143:144], v[16:17]
	v_fma_f64 v[143:144], v[61:62], s[26:27], v[117:118]
	v_fma_f64 v[117:118], v[61:62], s[26:27], -v[117:118]
	v_fma_f64 v[61:62], v[61:62], s[34:35], -v[111:112]
	v_add_f64_e32 v[18:19], v[143:144], v[18:19]
	v_fma_f64 v[143:144], v[57:58], s[22:23], -v[115:116]
	v_fma_f64 v[115:116], v[57:58], s[22:23], v[115:116]
	v_fma_f64 v[57:58], v[57:58], s[36:37], v[169:170]
	s_delay_alu instid0(VALU_DEP_3) | instskip(SKIP_3) | instid1(VALU_DEP_3)
	v_add_f64_e32 v[16:17], v[143:144], v[16:17]
	v_fma_f64 v[143:144], v[59:60], s[22:23], v[113:114]
	v_fma_f64 v[113:114], v[59:60], s[22:23], -v[113:114]
	v_fma_f64 v[59:60], v[59:60], s[36:37], -v[171:172]
	v_add_f64_e32 v[18:19], v[143:144], v[18:19]
	v_add_f64_e32 v[143:144], v[149:150], v[4:5]
	v_fma_f64 v[4:5], v[73:74], s[16:17], v[147:148]
	v_fma_f64 v[73:74], v[73:74], s[20:21], v[89:90]
	s_delay_alu instid0(VALU_DEP_3) | instskip(NEXT) | instid1(VALU_DEP_3)
	v_add_f64_e32 v[0:1], v[143:144], v[0:1]
	v_add_f64_e32 v[4:5], v[4:5], v[123:124]
	s_delay_alu instid0(VALU_DEP_3) | instskip(SKIP_1) | instid1(VALU_DEP_4)
	v_add_f64_e32 v[67:68], v[73:74], v[67:68]
	v_fma_f64 v[73:74], v[77:78], s[30:31], -v[95:96]
	v_add_f64_e32 v[0:1], v[0:1], v[24:25]
	s_delay_alu instid0(VALU_DEP_4)
	v_add_f64_e32 v[4:5], v[121:122], v[4:5]
	v_fma_f64 v[121:122], v[77:78], s[34:35], -v[137:138]
	v_add_f64_e32 v[67:68], v[79:80], v[67:68]
	v_fma_f64 v[77:78], v[81:82], s[22:23], -v[99:100]
	v_add_f64_e32 v[65:66], v[73:74], v[65:66]
	v_fma_f64 v[73:74], v[87:88], s[26:27], v[101:102]
	v_add_f64_e32 v[6:7], v[121:122], v[6:7]
	v_fma_f64 v[121:122], v[83:84], s[20:21], v[139:140]
	v_add_f64_e32 v[67:68], v[75:76], v[67:68]
	v_fma_f64 v[75:76], v[85:86], s[26:27], -v[103:104]
	v_add_f64_e32 v[65:66], v[77:78], v[65:66]
	s_delay_alu instid0(VALU_DEP_4) | instskip(SKIP_2) | instid1(VALU_DEP_4)
	v_add_f64_e32 v[4:5], v[121:122], v[4:5]
	v_fma_f64 v[121:122], v[81:82], s[20:21], -v[135:136]
	v_add_f64_e32 v[67:68], v[73:74], v[67:68]
	v_add_f64_e32 v[65:66], v[75:76], v[65:66]
	s_delay_alu instid0(VALU_DEP_3) | instskip(SKIP_1) | instid1(VALU_DEP_1)
	v_add_f64_e32 v[6:7], v[121:122], v[6:7]
	v_fma_f64 v[121:122], v[87:88], s[18:19], v[141:142]
	v_add_f64_e32 v[4:5], v[121:122], v[4:5]
	v_fma_f64 v[121:122], v[85:86], s[18:19], -v[133:134]
	s_delay_alu instid0(VALU_DEP_1) | instskip(SKIP_2) | instid1(VALU_DEP_2)
	v_add_f64_e32 v[6:7], v[121:122], v[6:7]
	v_fma_f64 v[121:122], v[71:72], s[30:31], v[127:128]
	v_fma_f64 v[71:72], v[71:72], s[18:19], v[105:106]
	v_add_f64_e32 v[4:5], v[121:122], v[4:5]
	v_fma_f64 v[121:122], v[69:70], s[30:31], -v[125:126]
	v_fma_f64 v[69:70], v[69:70], s[18:19], -v[107:108]
	s_delay_alu instid0(VALU_DEP_4) | instskip(NEXT) | instid1(VALU_DEP_4)
	v_add_f64_e32 v[67:68], v[71:72], v[67:68]
	v_add_f64_e32 v[4:5], v[119:120], v[4:5]
	s_delay_alu instid0(VALU_DEP_4) | instskip(NEXT) | instid1(VALU_DEP_4)
	v_add_f64_e32 v[6:7], v[121:122], v[6:7]
	v_add_f64_e32 v[65:66], v[69:70], v[65:66]
	;; [unrolled: 3-line block ×4, first 2 shown]
	s_delay_alu instid0(VALU_DEP_4) | instskip(NEXT) | instid1(VALU_DEP_3)
	v_add_f64_e32 v[57:58], v[57:58], v[63:64]
	v_add_f64_e32 v[6:7], v[113:114], v[6:7]
	s_delay_alu instid0(VALU_DEP_3)
	v_add_f64_e32 v[59:60], v[59:60], v[24:25]
	ds_store_b128 v181, v[12:15] offset:16
	ds_store_b128 v181, v[28:31] offset:32
	;; [unrolled: 1-line block ×16, first 2 shown]
	ds_store_b128 v181, v[0:3]
	global_wb scope:SCOPE_SE
	s_wait_dscnt 0x0
	s_barrier_signal -1
	s_barrier_wait -1
	global_inv scope:SCOPE_SE
	ds_load_b128 v[0:3], v181 offset:48
	ds_load_b128 v[4:7], v181 offset:64
	;; [unrolled: 1-line block ×4, first 2 shown]
	s_load_b512 s[0:15], s[38:39], 0x140
	s_wait_dscnt 0x3
	s_wait_kmcnt 0x0
	v_mul_f64_e32 v[16:17], s[2:3], v[2:3]
	v_mul_f64_e32 v[18:19], s[2:3], v[0:1]
	s_wait_dscnt 0x2
	v_mul_f64_e32 v[20:21], s[6:7], v[6:7]
	v_mul_f64_e32 v[22:23], s[6:7], v[4:5]
	s_wait_dscnt 0x1
	;; [unrolled: 3-line block ×3, first 2 shown]
	v_mul_f64_e32 v[28:29], s[14:15], v[14:15]
	v_mul_f64_e32 v[30:31], s[14:15], v[12:13]
	v_fma_f64 v[0:1], v[0:1], s[0:1], -v[16:17]
	v_fma_f64 v[2:3], v[2:3], s[0:1], v[18:19]
	v_fma_f64 v[4:5], v[4:5], s[4:5], -v[20:21]
	v_fma_f64 v[6:7], v[6:7], s[4:5], v[22:23]
	;; [unrolled: 2-line block ×4, first 2 shown]
	ds_load_b128 v[16:19], v181 offset:112
	ds_load_b128 v[20:23], v181 offset:128
	;; [unrolled: 1-line block ×4, first 2 shown]
	s_load_b512 s[0:15], s[38:39], 0x180
	s_wait_dscnt 0x3
	s_wait_kmcnt 0x0
	v_mul_f64_e32 v[32:33], s[2:3], v[18:19]
	v_mul_f64_e32 v[34:35], s[2:3], v[16:17]
	s_wait_dscnt 0x2
	v_mul_f64_e32 v[36:37], s[6:7], v[22:23]
	v_mul_f64_e32 v[38:39], s[6:7], v[20:21]
	s_wait_dscnt 0x1
	;; [unrolled: 3-line block ×3, first 2 shown]
	v_mul_f64_e32 v[44:45], s[14:15], v[30:31]
	v_mul_f64_e32 v[46:47], s[14:15], v[28:29]
	v_fma_f64 v[16:17], v[16:17], s[0:1], -v[32:33]
	v_fma_f64 v[18:19], v[18:19], s[0:1], v[34:35]
	v_fma_f64 v[20:21], v[20:21], s[4:5], -v[36:37]
	v_fma_f64 v[22:23], v[22:23], s[4:5], v[38:39]
	;; [unrolled: 2-line block ×4, first 2 shown]
	ds_load_b128 v[32:35], v181 offset:176
	ds_load_b128 v[36:39], v181 offset:192
	ds_load_b128 v[40:43], v181 offset:208
	ds_load_b128 v[44:47], v181 offset:224
	s_load_b512 s[0:15], s[38:39], 0x1c0
	s_wait_dscnt 0x3
	s_wait_kmcnt 0x0
	v_mul_f64_e32 v[48:49], s[2:3], v[34:35]
	v_mul_f64_e32 v[50:51], s[2:3], v[32:33]
	s_wait_dscnt 0x2
	v_mul_f64_e32 v[52:53], s[6:7], v[38:39]
	v_mul_f64_e32 v[54:55], s[6:7], v[36:37]
	s_wait_dscnt 0x1
	;; [unrolled: 3-line block ×3, first 2 shown]
	v_mul_f64_e32 v[61:62], s[14:15], v[46:47]
	v_mul_f64_e32 v[63:64], s[14:15], v[44:45]
	v_fma_f64 v[32:33], v[32:33], s[0:1], -v[48:49]
	v_fma_f64 v[34:35], v[34:35], s[0:1], v[50:51]
	v_fma_f64 v[36:37], v[36:37], s[4:5], -v[52:53]
	v_fma_f64 v[38:39], v[38:39], s[4:5], v[54:55]
	ds_load_b128 v[48:51], v181 offset:240
	ds_load_b128 v[52:55], v181 offset:256
	s_load_b256 s[0:7], s[38:39], 0x200
	v_fma_f64 v[40:41], v[40:41], s[8:9], -v[57:58]
	v_fma_f64 v[42:43], v[42:43], s[8:9], v[59:60]
	v_fma_f64 v[44:45], v[44:45], s[12:13], -v[61:62]
	v_fma_f64 v[46:47], v[46:47], s[12:13], v[63:64]
	s_mov_b32 s38, 0x5d8e7cdc
	s_mov_b32 s39, 0xbfd71e95
	s_wait_dscnt 0x1
	s_wait_kmcnt 0x0
	v_mul_f64_e32 v[57:58], s[2:3], v[50:51]
	v_mul_f64_e32 v[59:60], s[2:3], v[48:49]
	s_wait_dscnt 0x0
	v_mul_f64_e32 v[61:62], s[6:7], v[54:55]
	v_mul_f64_e32 v[63:64], s[6:7], v[52:53]
	s_delay_alu instid0(VALU_DEP_4) | instskip(NEXT) | instid1(VALU_DEP_4)
	v_fma_f64 v[48:49], v[48:49], s[0:1], -v[57:58]
	v_fma_f64 v[50:51], v[50:51], s[0:1], v[59:60]
	s_delay_alu instid0(VALU_DEP_4) | instskip(NEXT) | instid1(VALU_DEP_4)
	v_fma_f64 v[52:53], v[52:53], s[4:5], -v[61:62]
	v_fma_f64 v[54:55], v[54:55], s[4:5], v[63:64]
	ds_load_b128 v[57:60], v181
	ds_load_b128 v[61:64], v181 offset:16
	ds_load_b128 v[65:68], v181 offset:32
	v_readlane_b32 s0, v235, 2
	v_readlane_b32 s6, v235, 8
	;; [unrolled: 1-line block ×16, first 2 shown]
	s_wait_dscnt 0x2
	s_wait_alu 0xf1ff
	v_mul_f64_e32 v[69:70], s[6:7], v[59:60]
	v_mul_f64_e32 v[71:72], s[6:7], v[57:58]
	s_wait_dscnt 0x1
	v_mul_f64_e32 v[73:74], s[10:11], v[63:64]
	v_mul_f64_e32 v[77:78], s[10:11], v[61:62]
	s_wait_dscnt 0x0
	v_mul_f64_e32 v[75:76], s[14:15], v[67:68]
	v_mul_f64_e32 v[79:80], s[14:15], v[65:66]
	s_mov_b32 s6, 0x7c9e640b
	s_mov_b32 s7, 0xbfeca52d
	;; [unrolled: 1-line block ×4, first 2 shown]
	v_fma_f64 v[57:58], v[57:58], s[4:5], -v[69:70]
	v_fma_f64 v[59:60], v[59:60], s[4:5], v[71:72]
	v_fma_f64 v[61:62], v[61:62], s[8:9], -v[73:74]
	v_fma_f64 v[63:64], v[63:64], s[8:9], v[77:78]
	;; [unrolled: 2-line block ×3, first 2 shown]
	ds_store_b128 v181, v[57:60]
	ds_store_b128 v181, v[61:64] offset:16
	ds_store_b128 v181, v[65:68] offset:32
	;; [unrolled: 1-line block ×16, first 2 shown]
	global_wb scope:SCOPE_SE
	s_wait_dscnt 0x0
	s_barrier_signal -1
	s_barrier_wait -1
	global_inv scope:SCOPE_SE
	ds_load_b128 v[0:3], v181
	ds_load_b128 v[4:7], v181 offset:16
	ds_load_b128 v[12:15], v181 offset:32
	;; [unrolled: 1-line block ×13, first 2 shown]
	s_mov_b64 s[10:11], s[2:3]
	s_mov_b64 s[8:9], s[0:1]
	s_mov_b32 s0, 0xeb564b22
	s_mov_b32 s12, 0x4363dd80
	;; [unrolled: 1-line block ×7, first 2 shown]
	s_wait_dscnt 0xa
	v_add_f64_e32 v[57:58], v[12:13], v[8:9]
	v_add_f64_e32 v[59:60], v[14:15], v[10:11]
	s_wait_dscnt 0x8
	v_add_f64_e32 v[61:62], v[24:25], v[16:17]
	v_add_f64_e64 v[99:100], v[24:25], -v[16:17]
	s_wait_dscnt 0x6
	v_add_f64_e32 v[63:64], v[36:37], v[28:29]
	v_add_f64_e32 v[67:68], v[38:39], v[30:31]
	s_wait_dscnt 0x4
	v_add_f64_e32 v[97:98], v[54:55], v[46:47]
	v_add_f64_e64 v[101:102], v[54:55], -v[46:47]
	v_add_f64_e32 v[69:70], v[52:53], v[44:45]
	v_add_f64_e32 v[71:72], v[0:1], v[4:5]
	;; [unrolled: 1-line block ×3, first 2 shown]
	s_wait_dscnt 0x0
	v_add_f64_e32 v[107:108], v[50:51], v[42:43]
	v_add_f64_e64 v[109:110], v[50:51], -v[42:43]
	v_add_f64_e32 v[65:66], v[26:27], v[18:19]
	v_add_f64_e64 v[121:122], v[26:27], -v[18:19]
	v_add_f64_e64 v[111:112], v[12:13], -v[8:9]
	;; [unrolled: 1-line block ×3, first 2 shown]
	s_mov_b32 s3, 0xbfeec746
	v_mul_f64_e32 v[169:170], s[22:23], v[59:60]
	v_mul_f64_e32 v[186:187], s[26:27], v[67:68]
	;; [unrolled: 1-line block ×5, first 2 shown]
	v_add_f64_e32 v[71:72], v[71:72], v[12:13]
	v_add_f64_e32 v[73:74], v[73:74], v[14:15]
	v_mul_f64_e32 v[190:191], s[30:31], v[107:108]
	v_mul_f64_e32 v[188:189], s[24:25], v[109:110]
	;; [unrolled: 1-line block ×6, first 2 shown]
	v_add_f64_e32 v[71:72], v[71:72], v[20:21]
	v_add_f64_e32 v[73:74], v[73:74], v[22:23]
	s_delay_alu instid0(VALU_DEP_2) | instskip(NEXT) | instid1(VALU_DEP_2)
	v_add_f64_e32 v[71:72], v[71:72], v[24:25]
	v_add_f64_e32 v[73:74], v[73:74], v[26:27]
	s_delay_alu instid0(VALU_DEP_2) | instskip(NEXT) | instid1(VALU_DEP_2)
	;; [unrolled: 3-line block ×5, first 2 shown]
	v_add_f64_e32 v[71:72], v[71:72], v[52:53]
	v_add_f64_e32 v[73:74], v[73:74], v[54:55]
	v_add_f64_e64 v[52:53], v[52:53], -v[44:45]
	s_delay_alu instid0(VALU_DEP_3) | instskip(NEXT) | instid1(VALU_DEP_3)
	v_add_f64_e32 v[54:55], v[71:72], v[44:45]
	v_add_f64_e32 v[75:76], v[73:74], v[46:47]
	;; [unrolled: 1-line block ×3, first 2 shown]
	v_add_f64_e64 v[46:47], v[48:49], -v[40:41]
	v_add_f64_e64 v[48:49], v[36:37], -v[28:29]
	ds_load_b128 v[71:74], v181 offset:192
	s_wait_dscnt 0x0
	v_add_f64_e32 v[103:104], v[32:33], v[71:72]
	v_add_f64_e32 v[115:116], v[34:35], v[73:74]
	v_add_f64_e64 v[105:106], v[32:33], -v[71:72]
	v_add_f64_e64 v[119:120], v[34:35], -v[73:74]
	v_add_f64_e32 v[40:41], v[54:55], v[40:41]
	v_add_f64_e32 v[42:43], v[75:76], v[42:43]
	v_add_f64_e64 v[54:55], v[38:39], -v[30:31]
	v_fma_f64 v[228:229], v[46:47], s[44:45], v[226:227]
	v_fma_f64 v[220:221], v[48:49], s[44:45], v[218:219]
	v_mul_f64_e32 v[182:183], s[34:35], v[115:116]
	v_mul_f64_e32 v[163:164], s[16:17], v[115:116]
	;; [unrolled: 1-line block ×3, first 2 shown]
	v_add_f64_e32 v[28:29], v[40:41], v[28:29]
	v_add_f64_e32 v[36:37], v[42:43], v[30:31]
	s_wait_alu 0xfffe
	v_mul_f64_e32 v[159:160], s[14:15], v[54:55]
	v_mul_f64_e32 v[184:185], s[28:29], v[54:55]
	v_fma_f64 v[167:168], v[105:106], s[44:45], v[163:164]
	v_add_f64_e32 v[32:33], v[28:29], v[71:72]
	v_add_f64_e32 v[34:35], v[36:37], v[73:74]
	ds_load_b128 v[28:31], v181 offset:224
	s_wait_dscnt 0x0
	v_add_f64_e32 v[40:41], v[20:21], v[28:29]
	v_add_f64_e32 v[75:76], v[22:23], v[30:31]
	v_add_f64_e64 v[42:43], v[20:21], -v[28:29]
	v_add_f64_e64 v[50:51], v[22:23], -v[30:31]
	v_add_f64_e32 v[16:17], v[32:33], v[16:17]
	v_add_f64_e32 v[24:25], v[34:35], v[18:19]
	v_mul_f64_e32 v[173:174], s[18:19], v[75:76]
	s_delay_alu instid0(VALU_DEP_4) | instskip(NEXT) | instid1(VALU_DEP_4)
	v_mul_f64_e32 v[171:172], s[14:15], v[50:51]
	v_add_f64_e32 v[20:21], v[16:17], v[28:29]
	s_delay_alu instid0(VALU_DEP_4)
	v_add_f64_e32 v[22:23], v[24:25], v[30:31]
	ds_load_b128 v[16:19], v181 offset:256
	s_wait_dscnt 0x0
	v_add_f64_e64 v[12:13], v[6:7], -v[18:19]
	v_add_f64_e32 v[14:15], v[4:5], v[16:17]
	v_add_f64_e32 v[8:9], v[20:21], v[8:9]
	;; [unrolled: 1-line block ×4, first 2 shown]
	v_add_f64_e64 v[22:23], v[4:5], -v[16:17]
	v_mul_f64_e32 v[28:29], s[12:13], v[12:13]
	v_mul_f64_e32 v[24:25], s[38:39], v[12:13]
	;; [unrolled: 1-line block ×3, first 2 shown]
	v_add_f64_e32 v[4:5], v[8:9], v[16:17]
	v_add_f64_e32 v[6:7], v[10:11], v[18:19]
	v_mul_f64_e32 v[8:9], s[6:7], v[12:13]
	v_mul_f64_e32 v[10:11], s[0:1], v[12:13]
	;; [unrolled: 1-line block ×5, first 2 shown]
	v_fma_f64 v[87:88], v[14:15], s[34:35], v[28:29]
	v_fma_f64 v[89:90], v[14:15], s[34:35], -v[28:29]
	v_mul_f64_e32 v[28:29], s[34:35], v[20:21]
	v_fma_f64 v[30:31], v[14:15], s[16:17], v[24:25]
	v_fma_f64 v[24:25], v[14:15], s[16:17], -v[24:25]
	v_fma_f64 v[32:33], v[14:15], s[20:21], v[26:27]
	v_fma_f64 v[26:27], v[14:15], s[20:21], -v[26:27]
	;; [unrolled: 2-line block ×4, first 2 shown]
	v_mul_f64_e32 v[8:9], s[16:17], v[20:21]
	v_mul_f64_e32 v[10:11], s[20:21], v[20:21]
	v_fma_f64 v[79:80], v[14:15], s[26:27], v[16:17]
	v_fma_f64 v[81:82], v[14:15], s[26:27], -v[16:17]
	v_fma_f64 v[83:84], v[14:15], s[18:19], v[18:19]
	v_fma_f64 v[85:86], v[14:15], s[18:19], -v[18:19]
	;; [unrolled: 2-line block ×3, first 2 shown]
	v_mul_f64_e32 v[14:15], s[22:23], v[20:21]
	v_mul_f64_e32 v[18:19], s[18:19], v[20:21]
	;; [unrolled: 1-line block ×5, first 2 shown]
	v_add_f64_e32 v[89:90], v[0:1], v[89:90]
	v_fma_f64 v[147:148], v[22:23], s[12:13], v[28:29]
	v_fma_f64 v[143:144], v[22:23], s[100:101], v[28:29]
	v_add_f64_e32 v[153:154], v[0:1], v[30:31]
	v_add_f64_e32 v[30:31], v[0:1], v[77:78]
	v_fma_f64 v[71:72], v[22:23], s[44:45], v[8:9]
	v_fma_f64 v[8:9], v[22:23], s[38:39], v[8:9]
	;; [unrolled: 1-line block ×4, first 2 shown]
	v_add_f64_e32 v[10:11], v[0:1], v[32:33]
	v_add_f64_e32 v[145:146], v[0:1], v[81:82]
	;; [unrolled: 1-line block ×4, first 2 shown]
	v_fma_f64 v[127:128], v[22:23], s[42:43], v[14:15]
	v_fma_f64 v[135:136], v[22:23], s[46:47], v[18:19]
	;; [unrolled: 1-line block ×8, first 2 shown]
	v_fma_f64 v[149:150], v[22:23], vcc, v[20:21]
	v_fma_f64 v[151:152], v[22:23], s[102:103], v[20:21]
	v_add_f64_e32 v[14:15], v[0:1], v[26:27]
	v_add_f64_e32 v[22:23], v[0:1], v[34:35]
	;; [unrolled: 1-line block ×5, first 2 shown]
	v_mul_f64_e32 v[123:124], s[26:27], v[115:116]
	s_mov_b32 s14, 0x5d8e7cdc
	s_mov_b32 s15, 0xbfd71e95
	s_wait_alu 0xfffe
	v_mul_f64_e32 v[161:162], s[14:15], v[50:51]
	v_fma_f64 v[163:164], v[105:106], s[14:15], v[163:164]
	v_mul_f64_e32 v[214:215], s[14:15], v[54:55]
	v_fma_f64 v[218:219], v[48:49], s[14:15], v[218:219]
	;; [unrolled: 2-line block ×3, first 2 shown]
	v_add_f64_e32 v[155:156], v[2:3], v[71:72]
	v_add_f64_e32 v[73:74], v[2:3], v[8:9]
	v_add_f64_e32 v[8:9], v[2:3], v[91:92]
	v_add_f64_e32 v[91:92], v[2:3], v[147:148]
	v_mul_f64_e32 v[147:148], s[4:5], v[117:118]
	v_add_f64_e32 v[71:72], v[0:1], v[24:25]
	v_add_f64_e32 v[12:13], v[2:3], v[93:94]
	;; [unrolled: 1-line block ×7, first 2 shown]
	v_mul_f64_e32 v[135:136], s[6:7], v[50:51]
	v_add_f64_e32 v[20:21], v[2:3], v[95:96]
	v_add_f64_e32 v[38:39], v[2:3], v[133:134]
	v_mul_f64_e32 v[133:134], s[20:21], v[59:60]
	v_add_f64_e32 v[16:17], v[2:3], v[125:126]
	v_add_f64_e32 v[28:29], v[2:3], v[129:130]
	;; [unrolled: 1-line block ×7, first 2 shown]
	v_mul_f64_e32 v[129:130], s[0:1], v[121:122]
	v_mul_f64_e32 v[113:114], s[22:23], v[65:66]
	;; [unrolled: 1-line block ×4, first 2 shown]
	v_fma_f64 v[198:199], v[40:41], s[16:17], v[161:162]
	v_fma_f64 v[200:201], v[40:41], s[16:17], -v[161:162]
	v_mul_f64_e32 v[161:162], s[16:17], v[75:76]
	v_fma_f64 v[216:217], v[63:64], s[16:17], v[214:215]
	v_fma_f64 v[214:215], v[63:64], s[16:17], -v[214:215]
	v_fma_f64 v[224:225], v[44:45], s[16:17], v[222:223]
	v_fma_f64 v[222:223], v[44:45], s[16:17], -v[222:223]
	;; [unrolled: 2-line block ×4, first 2 shown]
	v_fma_f64 v[2:3], v[111:112], s[40:41], v[133:134]
	v_fma_f64 v[133:134], v[111:112], s[4:5], v[133:134]
	v_fma_f64 v[202:203], v[42:43], s[44:45], v[161:162]
	v_fma_f64 v[204:205], v[42:43], s[14:15], v[161:162]
	v_mul_f64_e32 v[161:162], s[44:45], v[121:122]
	v_add_f64_e32 v[0:1], v[0:1], v[153:154]
	v_add_f64_e32 v[2:3], v[2:3], v[155:156]
	s_delay_alu instid0(VALU_DEP_3) | instskip(SKIP_4) | instid1(VALU_DEP_3)
	v_fma_f64 v[206:207], v[61:62], s[16:17], v[161:162]
	v_fma_f64 v[208:209], v[61:62], s[16:17], -v[161:162]
	v_mul_f64_e32 v[161:162], s[16:17], v[65:66]
	v_add_f64_e32 v[0:1], v[36:37], v[0:1]
	v_mul_f64_e32 v[36:37], s[30:31], v[75:76]
	v_fma_f64 v[210:211], v[99:100], s[14:15], v[161:162]
	v_fma_f64 v[212:213], v[99:100], s[44:45], v[161:162]
	v_mul_f64_e32 v[161:162], s[14:15], v[119:120]
	s_delay_alu instid0(VALU_DEP_4) | instskip(NEXT) | instid1(VALU_DEP_2)
	v_fma_f64 v[77:78], v[42:43], s[24:25], v[36:37]
	v_fma_f64 v[165:166], v[103:104], s[16:17], v[161:162]
	v_fma_f64 v[161:162], v[103:104], s[16:17], -v[161:162]
	s_delay_alu instid0(VALU_DEP_3) | instskip(SKIP_2) | instid1(VALU_DEP_2)
	v_add_f64_e32 v[2:3], v[77:78], v[2:3]
	v_fma_f64 v[77:78], v[61:62], s[22:23], v[129:130]
	v_fma_f64 v[129:130], v[61:62], s[22:23], -v[129:130]
	v_add_f64_e32 v[0:1], v[77:78], v[0:1]
	v_fma_f64 v[77:78], v[99:100], s[42:43], v[113:114]
	s_delay_alu instid0(VALU_DEP_1) | instskip(SKIP_1) | instid1(VALU_DEP_1)
	v_add_f64_e32 v[2:3], v[77:78], v[2:3]
	v_fma_f64 v[77:78], v[103:104], s[26:27], v[131:132]
	v_add_f64_e32 v[0:1], v[77:78], v[0:1]
	v_fma_f64 v[77:78], v[105:106], s[28:29], v[123:124]
	v_fma_f64 v[123:124], v[105:106], s[2:3], v[123:124]
	s_delay_alu instid0(VALU_DEP_2) | instskip(SKIP_2) | instid1(VALU_DEP_2)
	v_add_f64_e32 v[2:3], v[77:78], v[2:3]
	v_fma_f64 v[77:78], v[63:64], s[18:19], v[159:160]
	v_fma_f64 v[159:160], v[63:64], s[18:19], -v[159:160]
	v_add_f64_e32 v[0:1], v[77:78], v[0:1]
	v_fma_f64 v[77:78], v[48:49], s[46:47], v[149:150]
	s_delay_alu instid0(VALU_DEP_1) | instskip(SKIP_1) | instid1(VALU_DEP_1)
	v_add_f64_e32 v[2:3], v[77:78], v[2:3]
	v_mul_f64_e32 v[77:78], s[12:13], v[109:110]
	v_fma_f64 v[79:80], v[44:45], s[34:35], v[77:78]
	s_delay_alu instid0(VALU_DEP_1) | instskip(SKIP_1) | instid1(VALU_DEP_1)
	v_add_f64_e32 v[0:1], v[79:80], v[0:1]
	v_mul_f64_e32 v[79:80], s[34:35], v[107:108]
	;; [unrolled: 4-line block ×4, first 2 shown]
	v_fma_f64 v[151:152], v[52:53], vcc, v[143:144]
	s_delay_alu instid0(VALU_DEP_1) | instskip(SKIP_1) | instid1(VALU_DEP_1)
	v_add_f64_e32 v[2:3], v[151:152], v[2:3]
	v_mul_f64_e32 v[151:152], s[0:1], v[117:118]
	v_fma_f64 v[153:154], v[57:58], s[22:23], v[151:152]
	v_fma_f64 v[196:197], v[57:58], s[22:23], -v[151:152]
	v_mul_f64_e32 v[151:152], s[44:45], v[117:118]
	s_delay_alu instid0(VALU_DEP_3)
	v_add_f64_e32 v[10:11], v[153:154], v[10:11]
	v_fma_f64 v[153:154], v[111:112], s[42:43], v[169:170]
	v_fma_f64 v[169:170], v[111:112], s[0:1], v[169:170]
	v_add_f64_e32 v[14:15], v[196:197], v[14:15]
	v_fma_f64 v[155:156], v[57:58], s[16:17], v[151:152]
	v_fma_f64 v[151:152], v[57:58], s[16:17], -v[151:152]
	v_add_f64_e32 v[8:9], v[153:154], v[8:9]
	v_fma_f64 v[153:154], v[40:41], s[18:19], v[171:172]
	v_add_f64_e32 v[12:13], v[169:170], v[12:13]
	v_fma_f64 v[169:170], v[40:41], s[18:19], -v[171:172]
	s_delay_alu instid0(VALU_DEP_3) | instskip(SKIP_1) | instid1(VALU_DEP_3)
	v_add_f64_e32 v[10:11], v[153:154], v[10:11]
	v_fma_f64 v[153:154], v[42:43], s[46:47], v[173:174]
	v_add_f64_e32 v[14:15], v[169:170], v[14:15]
	s_delay_alu instid0(VALU_DEP_2) | instskip(SKIP_1) | instid1(VALU_DEP_1)
	v_add_f64_e32 v[8:9], v[153:154], v[8:9]
	v_fma_f64 v[153:154], v[61:62], s[36:37], v[175:176]
	v_add_f64_e32 v[10:11], v[153:154], v[10:11]
	v_fma_f64 v[153:154], v[99:100], vcc, v[177:178]
	s_delay_alu instid0(VALU_DEP_1) | instskip(SKIP_1) | instid1(VALU_DEP_1)
	v_add_f64_e32 v[8:9], v[153:154], v[8:9]
	v_fma_f64 v[153:154], v[103:104], s[34:35], v[179:180]
	v_add_f64_e32 v[10:11], v[153:154], v[10:11]
	v_fma_f64 v[153:154], v[105:106], s[12:13], v[182:183]
	s_delay_alu instid0(VALU_DEP_1) | instskip(SKIP_1) | instid1(VALU_DEP_1)
	v_add_f64_e32 v[8:9], v[153:154], v[8:9]
	v_fma_f64 v[153:154], v[63:64], s[26:27], v[184:185]
	v_add_f64_e32 v[10:11], v[153:154], v[10:11]
	v_fma_f64 v[153:154], v[48:49], s[2:3], v[186:187]
	;; [unrolled: 5-line block ×3, first 2 shown]
	s_delay_alu instid0(VALU_DEP_1) | instskip(SKIP_2) | instid1(VALU_DEP_2)
	v_add_f64_e32 v[153:154], v[153:154], v[8:9]
	v_fma_f64 v[8:9], v[69:70], s[16:17], v[192:193]
	v_fma_f64 v[192:193], v[69:70], s[16:17], -v[192:193]
	v_add_f64_e32 v[8:9], v[8:9], v[10:11]
	v_fma_f64 v[10:11], v[52:53], s[14:15], v[194:195]
	v_fma_f64 v[194:195], v[52:53], s[44:45], v[194:195]
	s_delay_alu instid0(VALU_DEP_2) | instskip(SKIP_1) | instid1(VALU_DEP_1)
	v_add_f64_e32 v[10:11], v[10:11], v[153:154]
	v_mul_f64_e32 v[153:154], s[16:17], v[59:60]
	v_fma_f64 v[157:158], v[111:112], s[14:15], v[153:154]
	s_mov_b32 s14, 0x6c9a05f6
	s_mov_b32 s15, 0xbfe9895b
	v_fma_f64 v[153:154], v[111:112], s[44:45], v[153:154]
	s_wait_alu 0xfffe
	v_fma_f64 v[169:170], v[42:43], s[14:15], v[173:174]
	v_fma_f64 v[149:150], v[48:49], s[14:15], v[149:150]
	s_delay_alu instid0(VALU_DEP_2) | instskip(SKIP_1) | instid1(VALU_DEP_1)
	v_add_f64_e32 v[12:13], v[169:170], v[12:13]
	v_fma_f64 v[169:170], v[61:62], s[36:37], -v[175:176]
	v_add_f64_e32 v[14:15], v[169:170], v[14:15]
	v_fma_f64 v[169:170], v[99:100], s[102:103], v[177:178]
	s_delay_alu instid0(VALU_DEP_1) | instskip(SKIP_1) | instid1(VALU_DEP_1)
	v_add_f64_e32 v[12:13], v[169:170], v[12:13]
	v_fma_f64 v[169:170], v[103:104], s[34:35], -v[179:180]
	v_add_f64_e32 v[14:15], v[169:170], v[14:15]
	v_fma_f64 v[169:170], v[105:106], s[100:101], v[182:183]
	s_delay_alu instid0(VALU_DEP_1) | instskip(SKIP_1) | instid1(VALU_DEP_1)
	;; [unrolled: 5-line block ×3, first 2 shown]
	v_add_f64_e32 v[12:13], v[169:170], v[12:13]
	v_fma_f64 v[169:170], v[44:45], s[30:31], -v[188:189]
	v_add_f64_e32 v[14:15], v[169:170], v[14:15]
	v_fma_f64 v[169:170], v[46:47], s[24:25], v[190:191]
	s_delay_alu instid0(VALU_DEP_1) | instskip(NEXT) | instid1(VALU_DEP_3)
	v_add_f64_e32 v[169:170], v[169:170], v[12:13]
	v_add_f64_e32 v[12:13], v[192:193], v[14:15]
	v_mul_f64_e32 v[192:193], s[12:13], v[101:102]
	s_delay_alu instid0(VALU_DEP_3) | instskip(SKIP_2) | instid1(VALU_DEP_2)
	v_add_f64_e32 v[14:15], v[194:195], v[169:170]
	v_mul_f64_e32 v[169:170], s[14:15], v[117:118]
	v_mul_f64_e32 v[194:195], s[34:35], v[97:98]
	v_fma_f64 v[171:172], v[57:58], s[18:19], v[169:170]
	v_fma_f64 v[169:170], v[57:58], s[18:19], -v[169:170]
	s_delay_alu instid0(VALU_DEP_2) | instskip(SKIP_1) | instid1(VALU_DEP_3)
	v_add_f64_e32 v[22:23], v[171:172], v[22:23]
	v_mul_f64_e32 v[171:172], s[18:19], v[59:60]
	v_add_f64_e32 v[18:19], v[169:170], v[18:19]
	s_delay_alu instid0(VALU_DEP_2) | instskip(SKIP_2) | instid1(VALU_DEP_3)
	v_fma_f64 v[173:174], v[111:112], s[46:47], v[171:172]
	v_fma_f64 v[169:170], v[111:112], s[14:15], v[171:172]
	;; [unrolled: 1-line block ×3, first 2 shown]
	v_add_f64_e32 v[20:21], v[173:174], v[20:21]
	v_mul_f64_e32 v[173:174], vcc, v[50:51]
	s_delay_alu instid0(VALU_DEP_4) | instskip(NEXT) | instid1(VALU_DEP_2)
	v_add_f64_e32 v[16:17], v[169:170], v[16:17]
	v_fma_f64 v[175:176], v[40:41], s[36:37], v[173:174]
	v_fma_f64 v[169:170], v[40:41], s[36:37], -v[173:174]
	s_delay_alu instid0(VALU_DEP_2) | instskip(SKIP_1) | instid1(VALU_DEP_3)
	v_add_f64_e32 v[22:23], v[175:176], v[22:23]
	v_mul_f64_e32 v[175:176], s[36:37], v[75:76]
	v_add_f64_e32 v[18:19], v[169:170], v[18:19]
	s_delay_alu instid0(VALU_DEP_2) | instskip(SKIP_2) | instid1(VALU_DEP_3)
	v_fma_f64 v[177:178], v[42:43], s[102:103], v[175:176]
	v_fma_f64 v[169:170], v[42:43], vcc, v[175:176]
	v_mul_f64_e32 v[175:176], s[28:29], v[50:51]
	v_add_f64_e32 v[20:21], v[177:178], v[20:21]
	v_mul_f64_e32 v[177:178], s[28:29], v[121:122]
	s_delay_alu instid0(VALU_DEP_4) | instskip(NEXT) | instid1(VALU_DEP_2)
	v_add_f64_e32 v[16:17], v[169:170], v[16:17]
	v_fma_f64 v[179:180], v[61:62], s[26:27], v[177:178]
	v_fma_f64 v[169:170], v[61:62], s[26:27], -v[177:178]
	v_mul_f64_e32 v[177:178], s[26:27], v[75:76]
	s_delay_alu instid0(VALU_DEP_3) | instskip(SKIP_1) | instid1(VALU_DEP_4)
	v_add_f64_e32 v[22:23], v[179:180], v[22:23]
	v_mul_f64_e32 v[179:180], s[26:27], v[65:66]
	v_add_f64_e32 v[18:19], v[169:170], v[18:19]
	s_delay_alu instid0(VALU_DEP_2) | instskip(SKIP_2) | instid1(VALU_DEP_3)
	v_fma_f64 v[182:183], v[99:100], s[2:3], v[179:180]
	v_fma_f64 v[169:170], v[99:100], s[28:29], v[179:180]
	v_mul_f64_e32 v[179:180], s[6:7], v[119:120]
	v_add_f64_e32 v[20:21], v[182:183], v[20:21]
	v_mul_f64_e32 v[182:183], s[40:41], v[119:120]
	s_delay_alu instid0(VALU_DEP_4) | instskip(NEXT) | instid1(VALU_DEP_2)
	v_add_f64_e32 v[16:17], v[169:170], v[16:17]
	v_fma_f64 v[184:185], v[103:104], s[20:21], v[182:183]
	v_fma_f64 v[169:170], v[103:104], s[20:21], -v[182:183]
	v_mul_f64_e32 v[182:183], s[30:31], v[115:116]
	s_delay_alu instid0(VALU_DEP_3) | instskip(SKIP_1) | instid1(VALU_DEP_4)
	v_add_f64_e32 v[22:23], v[184:185], v[22:23]
	v_mul_f64_e32 v[184:185], s[20:21], v[115:116]
	v_add_f64_e32 v[18:19], v[169:170], v[18:19]
	s_delay_alu instid0(VALU_DEP_3) | instskip(NEXT) | instid1(VALU_DEP_3)
	v_add_f64_e32 v[22:23], v[216:217], v[22:23]
	v_fma_f64 v[186:187], v[105:106], s[4:5], v[184:185]
	v_fma_f64 v[169:170], v[105:106], s[40:41], v[184:185]
	s_delay_alu instid0(VALU_DEP_4)
	v_add_f64_e32 v[18:19], v[214:215], v[18:19]
	v_mul_f64_e32 v[184:185], s[12:13], v[54:55]
	v_mul_f64_e32 v[216:217], s[18:19], v[65:66]
	v_add_f64_e32 v[20:21], v[186:187], v[20:21]
	v_mul_f64_e32 v[186:187], s[0:1], v[109:110]
	v_add_f64_e32 v[16:17], v[169:170], v[16:17]
	s_delay_alu instid0(VALU_DEP_3) | instskip(NEXT) | instid1(VALU_DEP_3)
	v_add_f64_e32 v[20:21], v[220:221], v[20:21]
	v_fma_f64 v[188:189], v[44:45], s[22:23], v[186:187]
	v_fma_f64 v[169:170], v[44:45], s[22:23], -v[186:187]
	s_delay_alu instid0(VALU_DEP_4)
	v_add_f64_e32 v[16:17], v[218:219], v[16:17]
	v_mul_f64_e32 v[186:187], s[34:35], v[67:68]
	v_mul_f64_e32 v[218:219], s[18:19], v[115:116]
	;; [unrolled: 1-line block ×3, first 2 shown]
	v_add_f64_e32 v[22:23], v[188:189], v[22:23]
	v_mul_f64_e32 v[188:189], s[22:23], v[107:108]
	v_add_f64_e32 v[18:19], v[169:170], v[18:19]
	s_delay_alu instid0(VALU_DEP_2) | instskip(SKIP_2) | instid1(VALU_DEP_3)
	v_fma_f64 v[169:170], v[46:47], s[0:1], v[188:189]
	v_fma_f64 v[190:191], v[46:47], s[42:43], v[188:189]
	v_mul_f64_e32 v[188:189], s[46:47], v[109:110]
	v_add_f64_e32 v[169:170], v[169:170], v[16:17]
	v_fma_f64 v[16:17], v[69:70], s[34:35], -v[192:193]
	s_delay_alu instid0(VALU_DEP_4) | instskip(SKIP_2) | instid1(VALU_DEP_4)
	v_add_f64_e32 v[190:191], v[190:191], v[20:21]
	v_fma_f64 v[20:21], v[69:70], s[34:35], v[192:193]
	v_mul_f64_e32 v[192:193], s[40:41], v[101:102]
	v_add_f64_e32 v[16:17], v[16:17], v[18:19]
	v_add_f64_e32 v[18:19], v[171:172], v[169:170]
	v_mul_f64_e32 v[169:170], s[102:103], v[117:118]
	v_add_f64_e32 v[20:21], v[20:21], v[22:23]
	v_fma_f64 v[22:23], v[52:53], s[100:101], v[194:195]
	v_mul_f64_e32 v[194:195], s[20:21], v[97:98]
	s_delay_alu instid0(VALU_DEP_4) | instskip(SKIP_1) | instid1(VALU_DEP_4)
	v_fma_f64 v[171:172], v[57:58], s[36:37], v[169:170]
	v_fma_f64 v[169:170], v[57:58], s[36:37], -v[169:170]
	v_add_f64_e32 v[22:23], v[22:23], v[190:191]
	v_mul_f64_e32 v[190:191], s[18:19], v[107:108]
	s_delay_alu instid0(VALU_DEP_4) | instskip(SKIP_3) | instid1(VALU_DEP_3)
	v_add_f64_e32 v[26:27], v[171:172], v[26:27]
	v_mul_f64_e32 v[171:172], s[36:37], v[59:60]
	v_add_f64_e32 v[30:31], v[169:170], v[30:31]
	v_mul_f64_e32 v[169:170], s[46:47], v[121:122]
	v_fma_f64 v[173:174], v[111:112], vcc, v[171:172]
	v_fma_f64 v[196:197], v[111:112], s[102:103], v[171:172]
	s_delay_alu instid0(VALU_DEP_2) | instskip(SKIP_2) | instid1(VALU_DEP_4)
	v_add_f64_e32 v[24:25], v[173:174], v[24:25]
	v_fma_f64 v[173:174], v[40:41], s[26:27], v[175:176]
	v_fma_f64 v[175:176], v[40:41], s[26:27], -v[175:176]
	v_add_f64_e32 v[28:29], v[196:197], v[28:29]
	s_delay_alu instid0(VALU_DEP_3) | instskip(SKIP_1) | instid1(VALU_DEP_4)
	v_add_f64_e32 v[26:27], v[173:174], v[26:27]
	v_fma_f64 v[173:174], v[42:43], s[2:3], v[177:178]
	v_add_f64_e32 v[30:31], v[175:176], v[30:31]
	v_fma_f64 v[175:176], v[42:43], s[28:29], v[177:178]
	v_fma_f64 v[177:178], v[52:53], s[40:41], v[194:195]
	v_add_f64_e32 v[26:27], v[206:207], v[26:27]
	v_add_f64_e32 v[24:25], v[173:174], v[24:25]
	v_fma_f64 v[173:174], v[103:104], s[30:31], v[179:180]
	v_add_f64_e32 v[28:29], v[175:176], v[28:29]
	v_add_f64_e32 v[30:31], v[208:209], v[30:31]
	v_fma_f64 v[175:176], v[103:104], s[30:31], -v[179:180]
	v_fma_f64 v[208:209], v[99:100], s[46:47], v[216:217]
	v_fma_f64 v[206:207], v[61:62], s[18:19], v[169:170]
	v_add_f64_e32 v[24:25], v[210:211], v[24:25]
	v_add_f64_e32 v[26:27], v[173:174], v[26:27]
	v_fma_f64 v[173:174], v[105:106], s[24:25], v[182:183]
	v_add_f64_e32 v[28:29], v[212:213], v[28:29]
	v_add_f64_e32 v[30:31], v[175:176], v[30:31]
	v_fma_f64 v[175:176], v[105:106], s[6:7], v[182:183]
	v_mul_f64_e32 v[210:211], s[14:15], v[101:102]
	v_fma_f64 v[212:213], v[105:106], s[46:47], v[218:219]
	v_add_f64_e32 v[24:25], v[173:174], v[24:25]
	v_fma_f64 v[173:174], v[63:64], s[34:35], v[184:185]
	v_add_f64_e32 v[28:29], v[175:176], v[28:29]
	v_fma_f64 v[175:176], v[63:64], s[34:35], -v[184:185]
	v_fma_f64 v[214:215], v[69:70], s[18:19], v[210:211]
	v_fma_f64 v[210:211], v[69:70], s[18:19], -v[210:211]
	v_add_f64_e32 v[26:27], v[173:174], v[26:27]
	v_fma_f64 v[173:174], v[48:49], s[100:101], v[186:187]
	v_add_f64_e32 v[30:31], v[175:176], v[30:31]
	v_fma_f64 v[175:176], v[48:49], s[12:13], v[186:187]
	s_delay_alu instid0(VALU_DEP_3) | instskip(SKIP_2) | instid1(VALU_DEP_4)
	v_add_f64_e32 v[24:25], v[173:174], v[24:25]
	v_fma_f64 v[173:174], v[44:45], s[18:19], v[188:189]
	v_fma_f64 v[188:189], v[44:45], s[18:19], -v[188:189]
	v_add_f64_e32 v[28:29], v[175:176], v[28:29]
	v_fma_f64 v[175:176], v[46:47], s[46:47], v[190:191]
	s_delay_alu instid0(VALU_DEP_4) | instskip(NEXT) | instid1(VALU_DEP_4)
	v_add_f64_e32 v[26:27], v[173:174], v[26:27]
	v_add_f64_e32 v[30:31], v[188:189], v[30:31]
	v_fma_f64 v[173:174], v[46:47], s[14:15], v[190:191]
	s_delay_alu instid0(VALU_DEP_4) | instskip(SKIP_1) | instid1(VALU_DEP_3)
	v_add_f64_e32 v[175:176], v[175:176], v[28:29]
	v_fma_f64 v[28:29], v[69:70], s[20:21], -v[192:193]
	v_add_f64_e32 v[173:174], v[173:174], v[24:25]
	v_fma_f64 v[24:25], v[69:70], s[20:21], v[192:193]
	s_delay_alu instid0(VALU_DEP_3) | instskip(SKIP_2) | instid1(VALU_DEP_4)
	v_add_f64_e32 v[28:29], v[28:29], v[30:31]
	v_add_f64_e32 v[30:31], v[177:178], v[175:176]
	v_mul_f64_e32 v[175:176], s[100:101], v[117:118]
	v_add_f64_e32 v[24:25], v[24:25], v[26:27]
	v_fma_f64 v[26:27], v[52:53], s[4:5], v[194:195]
	s_delay_alu instid0(VALU_DEP_3) | instskip(SKIP_1) | instid1(VALU_DEP_3)
	v_fma_f64 v[177:178], v[57:58], s[34:35], v[175:176]
	v_fma_f64 v[175:176], v[57:58], s[34:35], -v[175:176]
	v_add_f64_e32 v[26:27], v[26:27], v[173:174]
	v_fma_f64 v[173:174], v[61:62], s[18:19], -v[169:170]
	s_delay_alu instid0(VALU_DEP_4) | instskip(SKIP_3) | instid1(VALU_DEP_3)
	v_add_f64_e32 v[34:35], v[177:178], v[34:35]
	v_mul_f64_e32 v[177:178], s[34:35], v[59:60]
	v_add_f64_e32 v[145:146], v[175:176], v[145:146]
	v_mul_f64_e32 v[169:170], s[14:15], v[119:120]
	v_fma_f64 v[179:180], v[111:112], s[12:13], v[177:178]
	v_fma_f64 v[175:176], v[111:112], s[100:101], v[177:178]
	v_mul_f64_e32 v[177:178], s[40:41], v[121:122]
	s_delay_alu instid0(VALU_DEP_4) | instskip(SKIP_4) | instid1(VALU_DEP_2)
	v_fma_f64 v[171:172], v[103:104], s[18:19], v[169:170]
	v_fma_f64 v[169:170], v[103:104], s[18:19], -v[169:170]
	v_add_f64_e32 v[32:33], v[179:180], v[32:33]
	v_mul_f64_e32 v[179:180], s[40:41], v[50:51]
	v_add_f64_e32 v[38:39], v[175:176], v[38:39]
	v_fma_f64 v[182:183], v[40:41], s[20:21], v[179:180]
	v_fma_f64 v[175:176], v[40:41], s[20:21], -v[179:180]
	v_fma_f64 v[179:180], v[61:62], s[20:21], v[177:178]
	v_fma_f64 v[177:178], v[61:62], s[20:21], -v[177:178]
	s_delay_alu instid0(VALU_DEP_4) | instskip(SKIP_2) | instid1(VALU_DEP_2)
	v_add_f64_e32 v[34:35], v[182:183], v[34:35]
	v_mul_f64_e32 v[182:183], s[20:21], v[75:76]
	v_add_f64_e32 v[145:146], v[175:176], v[145:146]
	v_fma_f64 v[184:185], v[42:43], s[4:5], v[182:183]
	v_fma_f64 v[175:176], v[42:43], s[40:41], v[182:183]
	v_mul_f64_e32 v[182:183], s[4:5], v[54:55]
	s_delay_alu instid0(VALU_DEP_3) | instskip(SKIP_1) | instid1(VALU_DEP_4)
	v_add_f64_e32 v[32:33], v[184:185], v[32:33]
	v_mul_f64_e32 v[184:185], s[6:7], v[121:122]
	v_add_f64_e32 v[38:39], v[175:176], v[38:39]
	s_delay_alu instid0(VALU_DEP_2) | instskip(SKIP_3) | instid1(VALU_DEP_4)
	v_fma_f64 v[186:187], v[61:62], s[30:31], v[184:185]
	v_fma_f64 v[175:176], v[61:62], s[30:31], -v[184:185]
	v_fma_f64 v[184:185], v[63:64], s[20:21], v[182:183]
	v_fma_f64 v[182:183], v[63:64], s[20:21], -v[182:183]
	v_add_f64_e32 v[34:35], v[186:187], v[34:35]
	v_mul_f64_e32 v[186:187], s[30:31], v[65:66]
	v_add_f64_e32 v[145:146], v[175:176], v[145:146]
	s_delay_alu instid0(VALU_DEP_2) | instskip(SKIP_2) | instid1(VALU_DEP_3)
	v_fma_f64 v[188:189], v[99:100], s[24:25], v[186:187]
	v_fma_f64 v[175:176], v[99:100], s[6:7], v[186:187]
	v_mul_f64_e32 v[186:187], s[40:41], v[109:110]
	v_add_f64_e32 v[32:33], v[188:189], v[32:33]
	v_mul_f64_e32 v[188:189], s[102:103], v[119:120]
	s_delay_alu instid0(VALU_DEP_4) | instskip(NEXT) | instid1(VALU_DEP_2)
	v_add_f64_e32 v[38:39], v[175:176], v[38:39]
	v_fma_f64 v[190:191], v[103:104], s[36:37], v[188:189]
	v_fma_f64 v[175:176], v[103:104], s[36:37], -v[188:189]
	v_mul_f64_e32 v[188:189], s[30:31], v[59:60]
	v_mul_f64_e32 v[59:60], s[26:27], v[59:60]
	s_delay_alu instid0(VALU_DEP_4) | instskip(SKIP_3) | instid1(VALU_DEP_3)
	v_add_f64_e32 v[34:35], v[190:191], v[34:35]
	v_mul_f64_e32 v[190:191], s[36:37], v[115:116]
	v_add_f64_e32 v[145:146], v[175:176], v[145:146]
	v_mul_f64_e32 v[115:116], s[22:23], v[115:116]
	v_fma_f64 v[192:193], v[105:106], vcc, v[190:191]
	v_fma_f64 v[175:176], v[105:106], s[102:103], v[190:191]
	v_mul_f64_e32 v[190:191], s[30:31], v[67:68]
	s_delay_alu instid0(VALU_DEP_3) | instskip(SKIP_1) | instid1(VALU_DEP_4)
	v_add_f64_e32 v[32:33], v[192:193], v[32:33]
	v_mul_f64_e32 v[192:193], s[42:43], v[54:55]
	v_add_f64_e32 v[38:39], v[175:176], v[38:39]
	s_delay_alu instid0(VALU_DEP_2) | instskip(SKIP_2) | instid1(VALU_DEP_3)
	v_fma_f64 v[194:195], v[63:64], s[22:23], v[192:193]
	v_fma_f64 v[175:176], v[63:64], s[22:23], -v[192:193]
	v_mul_f64_e32 v[192:193], s[30:31], v[97:98]
	v_add_f64_e32 v[34:35], v[194:195], v[34:35]
	v_mul_f64_e32 v[194:195], s[22:23], v[67:68]
	s_delay_alu instid0(VALU_DEP_4) | instskip(NEXT) | instid1(VALU_DEP_4)
	v_add_f64_e32 v[145:146], v[175:176], v[145:146]
	v_fma_f64 v[230:231], v[52:53], s[6:7], v[192:193]
	v_fma_f64 v[192:193], v[52:53], s[24:25], v[192:193]
	v_add_f64_e32 v[34:35], v[224:225], v[34:35]
	v_fma_f64 v[175:176], v[48:49], s[42:43], v[194:195]
	v_add_f64_e32 v[145:146], v[222:223], v[145:146]
	v_fma_f64 v[196:197], v[48:49], s[0:1], v[194:195]
	v_fma_f64 v[194:195], v[111:112], s[6:7], v[188:189]
	v_fma_f64 v[222:223], v[48:49], s[6:7], v[190:191]
	v_fma_f64 v[190:191], v[48:49], s[24:25], v[190:191]
	v_add_f64_e32 v[38:39], v[175:176], v[38:39]
	v_fma_f64 v[175:176], v[42:43], s[6:7], v[36:37]
	v_add_f64_e32 v[36:37], v[210:211], v[145:146]
	v_mul_f64_e32 v[145:146], s[28:29], v[117:118]
	v_add_f64_e32 v[32:33], v[196:197], v[32:33]
	v_fma_f64 v[196:197], v[99:100], s[14:15], v[216:217]
	v_fma_f64 v[216:217], v[105:106], s[14:15], v[218:219]
	;; [unrolled: 1-line block ×3, first 2 shown]
	v_mul_f64_e32 v[117:118], s[24:25], v[117:118]
	v_fma_f64 v[220:221], v[52:53], s[14:15], v[220:221]
	s_lshl_b64 s[6:7], s[48:49], 5
	v_add_f64_e32 v[38:39], v[226:227], v[38:39]
	v_fma_f64 v[210:211], v[57:58], s[26:27], v[145:146]
	v_add_f64_e32 v[224:225], v[228:229], v[32:33]
	v_add_f64_e32 v[32:33], v[214:215], v[34:35]
	v_fma_f64 v[145:146], v[57:58], s[26:27], -v[145:146]
	v_fma_f64 v[214:215], v[44:45], s[20:21], v[186:187]
	v_mul_f64_e32 v[228:229], s[20:21], v[107:108]
	v_fma_f64 v[186:187], v[44:45], s[20:21], -v[186:187]
	v_add_f64_e32 v[38:39], v[220:221], v[38:39]
	v_mul_f64_e32 v[220:221], s[24:25], v[54:55]
	v_mul_f64_e32 v[54:55], s[102:103], v[54:55]
	v_add_f64_e32 v[139:140], v[210:211], v[139:140]
	v_fma_f64 v[210:211], v[111:112], s[2:3], v[59:60]
	v_add_f64_e32 v[34:35], v[218:219], v[224:225]
	v_mul_f64_e32 v[218:219], s[20:21], v[65:66]
	v_mul_f64_e32 v[65:66], s[34:35], v[65:66]
	;; [unrolled: 1-line block ×3, first 2 shown]
	v_add_f64_e32 v[127:128], v[145:146], v[127:128]
	v_mul_f64_e32 v[145:146], s[2:3], v[101:102]
	v_add_f64_e32 v[67:68], v[194:195], v[95:96]
	v_fma_f64 v[226:227], v[46:47], s[4:5], v[228:229]
	v_fma_f64 v[228:229], v[46:47], s[40:41], v[228:229]
	v_add_f64_e32 v[139:140], v[198:199], v[139:140]
	v_mul_f64_e32 v[198:199], s[12:13], v[121:122]
	v_add_f64_e32 v[137:138], v[210:211], v[137:138]
	s_delay_alu instid0(VALU_DEP_2) | instskip(NEXT) | instid1(VALU_DEP_2)
	v_fma_f64 v[121:122], v[61:62], s[34:35], v[198:199]
	v_add_f64_e32 v[137:138], v[202:203], v[137:138]
	v_fma_f64 v[61:62], v[61:62], s[34:35], -v[198:199]
	v_fma_f64 v[198:199], v[69:70], s[26:27], v[145:146]
	v_fma_f64 v[145:146], v[69:70], s[26:27], -v[145:146]
	v_add_f64_e32 v[121:122], v[121:122], v[139:140]
	v_fma_f64 v[139:140], v[99:100], s[100:101], v[65:66]
	v_fma_f64 v[65:66], v[99:100], s[12:13], v[65:66]
	s_delay_alu instid0(VALU_DEP_2) | instskip(SKIP_1) | instid1(VALU_DEP_1)
	v_add_f64_e32 v[137:138], v[139:140], v[137:138]
	v_mul_f64_e32 v[139:140], s[42:43], v[119:120]
	v_fma_f64 v[119:120], v[103:104], s[22:23], v[139:140]
	s_delay_alu instid0(VALU_DEP_1) | instskip(SKIP_2) | instid1(VALU_DEP_3)
	v_add_f64_e32 v[119:120], v[119:120], v[121:122]
	v_fma_f64 v[121:122], v[105:106], s[0:1], v[115:116]
	v_fma_f64 v[105:106], v[105:106], s[42:43], v[115:116]
	v_add_f64_e32 v[119:120], v[184:185], v[119:120]
	s_delay_alu instid0(VALU_DEP_3) | instskip(SKIP_1) | instid1(VALU_DEP_1)
	v_add_f64_e32 v[121:122], v[121:122], v[137:138]
	v_fma_f64 v[137:138], v[48:49], s[40:41], v[224:225]
	v_add_f64_e32 v[121:122], v[137:138], v[121:122]
	v_mul_f64_e32 v[137:138], s[102:103], v[109:110]
	v_mul_f64_e32 v[109:110], s[2:3], v[109:110]
	s_delay_alu instid0(VALU_DEP_2) | instskip(NEXT) | instid1(VALU_DEP_1)
	v_fma_f64 v[184:185], v[44:45], s[36:37], v[137:138]
	v_add_f64_e32 v[119:120], v[184:185], v[119:120]
	v_mul_f64_e32 v[184:185], s[36:37], v[107:108]
	v_mul_f64_e32 v[107:108], s[26:27], v[107:108]
	s_delay_alu instid0(VALU_DEP_2) | instskip(NEXT) | instid1(VALU_DEP_2)
	v_fma_f64 v[202:203], v[46:47], vcc, v[184:185]
	v_fma_f64 v[115:116], v[46:47], s[28:29], v[107:108]
	v_fma_f64 v[107:108], v[46:47], s[2:3], v[107:108]
	s_delay_alu instid0(VALU_DEP_3) | instskip(SKIP_1) | instid1(VALU_DEP_2)
	v_add_f64_e32 v[121:122], v[202:203], v[121:122]
	v_mul_f64_e32 v[202:203], s[24:25], v[101:102]
	v_add_f64_e32 v[121:122], v[230:231], v[121:122]
	s_delay_alu instid0(VALU_DEP_2) | instskip(SKIP_1) | instid1(VALU_DEP_2)
	v_fma_f64 v[210:211], v[69:70], s[30:31], v[202:203]
	v_fma_f64 v[202:203], v[69:70], s[30:31], -v[202:203]
	v_add_f64_e32 v[119:120], v[210:211], v[119:120]
	v_fma_f64 v[210:211], v[57:58], s[30:31], v[117:118]
	v_fma_f64 v[117:118], v[57:58], s[30:31], -v[117:118]
	v_fma_f64 v[57:58], v[111:112], s[28:29], v[59:60]
	v_fma_f64 v[59:60], v[48:49], s[4:5], v[224:225]
	;; [unrolled: 1-line block ×7, first 2 shown]
	v_fma_f64 v[220:221], v[63:64], s[30:31], -v[220:221]
	s_lshl_b64 s[4:5], s[48:49], 4
	v_add_f64_e32 v[57:58], v[57:58], v[125:126]
	v_add_f64_e32 v[125:126], v[200:201], v[127:128]
	v_fma_f64 v[127:128], v[103:104], s[26:27], -v[131:132]
	v_fma_f64 v[103:104], v[103:104], s[22:23], -v[139:140]
	v_mul_f64_e32 v[200:201], s[26:27], v[97:98]
	v_fma_f64 v[131:132], v[44:45], s[26:27], v[109:110]
	v_mul_f64_e32 v[97:98], s[22:23], v[97:98]
	v_fma_f64 v[109:110], v[44:45], s[26:27], -v[109:110]
	v_add_f64_e32 v[57:58], v[204:205], v[57:58]
	v_add_f64_e32 v[61:62], v[61:62], v[125:126]
	v_fma_f64 v[139:140], v[52:53], s[28:29], v[200:201]
	v_fma_f64 v[200:201], v[52:53], s[2:3], v[200:201]
	;; [unrolled: 1-line block ×5, first 2 shown]
	s_mov_b32 s2, 0x1e1e1e1e
	s_mov_b32 s3, 0x3fae1e1e
	v_add_f64_e32 v[57:58], v[65:66], v[57:58]
	v_add_f64_e32 v[61:62], v[103:104], v[61:62]
	v_mul_f64_e32 v[65:66], s[42:43], v[101:102]
	v_mul_f64_e32 v[101:102], s[0:1], v[50:51]
	s_delay_alu instid0(VALU_DEP_4) | instskip(NEXT) | instid1(VALU_DEP_4)
	v_add_f64_e32 v[57:58], v[105:106], v[57:58]
	v_add_f64_e32 v[61:62], v[182:183], v[61:62]
	s_delay_alu instid0(VALU_DEP_4) | instskip(NEXT) | instid1(VALU_DEP_4)
	v_fma_f64 v[125:126], v[69:70], s[22:23], v[65:66]
	v_fma_f64 v[103:104], v[40:41], s[22:23], v[101:102]
	v_fma_f64 v[204:205], v[69:70], s[22:23], -v[65:66]
	v_mul_f64_e32 v[65:66], s[22:23], v[75:76]
	v_fma_f64 v[101:102], v[40:41], s[22:23], -v[101:102]
	v_mul_f64_e32 v[75:76], s[34:35], v[75:76]
	v_add_f64_e32 v[57:58], v[59:60], v[57:58]
	v_fma_f64 v[59:60], v[44:45], s[36:37], -v[137:138]
	v_fma_f64 v[44:45], v[44:45], s[34:35], -v[77:78]
	v_fma_f64 v[105:106], v[42:43], s[42:43], v[65:66]
	v_fma_f64 v[113:114], v[42:43], s[0:1], v[65:66]
	v_fma_f64 v[65:66], v[48:49], vcc, v[232:233]
	v_fma_f64 v[48:49], v[48:49], s[102:103], v[232:233]
	v_fma_f64 v[182:183], v[42:43], s[100:101], v[75:76]
	;; [unrolled: 1-line block ×3, first 2 shown]
	v_add_f64_e32 v[75:76], v[153:154], v[83:84]
	v_readlane_b32 s0, v234, 2
	v_readlane_b32 s1, v234, 3
	s_load_b64 s[0:1], s[0:1], 0x38
	v_add_f64_e32 v[59:60], v[59:60], v[61:62]
	v_fma_f64 v[61:62], v[46:47], s[102:103], v[184:185]
	v_fma_f64 v[46:47], v[46:47], s[12:13], v[79:80]
	v_add_f64_e32 v[67:68], v[105:106], v[67:68]
	v_add_f64_e32 v[42:43], v[42:43], v[75:76]
	s_delay_alu instid0(VALU_DEP_4) | instskip(SKIP_1) | instid1(VALU_DEP_4)
	v_add_f64_e32 v[61:62], v[61:62], v[57:58]
	v_add_f64_e32 v[57:58], v[202:203], v[59:60]
	;; [unrolled: 1-line block ×3, first 2 shown]
	s_delay_alu instid0(VALU_DEP_4) | instskip(NEXT) | instid1(VALU_DEP_4)
	v_add_f64_e32 v[42:43], v[218:219], v[42:43]
	v_add_f64_e32 v[59:60], v[192:193], v[61:62]
	;; [unrolled: 1-line block ×3, first 2 shown]
	v_fma_f64 v[93:94], v[63:64], s[36:37], v[54:55]
	v_add_f64_e32 v[67:68], v[167:168], v[67:68]
	v_fma_f64 v[54:55], v[63:64], s[36:37], -v[54:55]
	v_add_f64_e32 v[42:43], v[216:217], v[42:43]
	v_add_f64_e32 v[61:62], v[103:104], v[61:62]
	s_delay_alu instid0(VALU_DEP_4) | instskip(NEXT) | instid1(VALU_DEP_3)
	v_add_f64_e32 v[65:66], v[65:66], v[67:68]
	v_add_f64_e32 v[42:43], v[190:191], v[42:43]
	s_delay_alu instid0(VALU_DEP_3) | instskip(NEXT) | instid1(VALU_DEP_3)
	v_add_f64_e32 v[61:62], v[206:207], v[61:62]
	v_add_f64_e32 v[67:68], v[226:227], v[65:66]
	s_delay_alu instid0(VALU_DEP_3) | instskip(NEXT) | instid1(VALU_DEP_3)
	;; [unrolled: 3-line block ×3, first 2 shown]
	v_add_f64_e32 v[67:68], v[139:140], v[67:68]
	v_add_f64_e32 v[42:43], v[97:98], v[42:43]
	s_delay_alu instid0(VALU_DEP_3) | instskip(NEXT) | instid1(VALU_DEP_1)
	v_add_f64_e32 v[61:62], v[93:94], v[61:62]
	v_add_f64_e32 v[61:62], v[214:215], v[61:62]
	s_delay_alu instid0(VALU_DEP_1) | instskip(SKIP_2) | instid1(VALU_DEP_2)
	v_add_f64_e32 v[65:66], v[198:199], v[61:62]
	v_add_f64_e32 v[61:62], v[117:118], v[89:90]
	;; [unrolled: 1-line block ×4, first 2 shown]
	s_delay_alu instid0(VALU_DEP_2) | instskip(NEXT) | instid1(VALU_DEP_2)
	v_add_f64_e32 v[89:90], v[113:114], v[89:90]
	v_add_f64_e32 v[61:62], v[173:174], v[61:62]
	s_delay_alu instid0(VALU_DEP_2) | instskip(NEXT) | instid1(VALU_DEP_2)
	v_add_f64_e32 v[89:90], v[208:209], v[89:90]
	v_add_f64_e32 v[61:62], v[161:162], v[61:62]
	;; [unrolled: 3-line block ×5, first 2 shown]
	s_delay_alu instid0(VALU_DEP_2)
	v_add_f64_e32 v[63:64], v[200:201], v[48:49]
	v_add_f64_e32 v[48:49], v[155:156], v[85:86]
	v_mul_f64_e32 v[85:86], s[12:13], v[50:51]
	v_add_f64_e32 v[54:55], v[157:158], v[87:88]
	v_readlane_b32 s12, v235, 18
	v_readlane_b32 s14, v235, 20
	;; [unrolled: 1-line block ×16, first 2 shown]
	v_fma_f64 v[50:51], v[40:41], s[34:35], v[85:86]
	v_fma_f64 v[40:41], v[40:41], s[34:35], -v[85:86]
	s_delay_alu instid0(VALU_DEP_2) | instskip(SKIP_2) | instid1(VALU_DEP_3)
	v_add_f64_e32 v[48:49], v[50:51], v[48:49]
	v_add_f64_e32 v[50:51], v[182:183], v[54:55]
	;; [unrolled: 1-line block ×4, first 2 shown]
	s_delay_alu instid0(VALU_DEP_3) | instskip(NEXT) | instid1(VALU_DEP_3)
	v_add_f64_e32 v[50:51], v[188:189], v[50:51]
	v_add_f64_e32 v[40:41], v[40:41], v[54:55]
	;; [unrolled: 1-line block ×24, first 2 shown]
	s_delay_alu instid0(VALU_DEP_3) | instskip(NEXT) | instid1(VALU_DEP_3)
	v_add_f64_e32 v[40:41], v[204:205], v[40:41]
	v_add_f64_e32 v[44:45], v[44:45], v[54:55]
	s_delay_alu instid0(VALU_DEP_3) | instskip(SKIP_1) | instid1(VALU_DEP_2)
	v_add_f64_e32 v[46:47], v[46:47], v[71:72]
	v_fma_f64 v[54:55], v[69:70], s[36:37], -v[141:142]
	v_add_f64_e32 v[46:47], v[52:53], v[46:47]
	s_delay_alu instid0(VALU_DEP_2)
	v_add_f64_e32 v[44:45], v[54:55], v[44:45]
	ds_store_b128 v181, v[0:3] offset:16
	ds_store_b128 v181, v[8:11] offset:32
	;; [unrolled: 1-line block ×10, first 2 shown]
	ds_store_b128 v181, v[4:7]
	ds_store_b128 v181, v[57:60] offset:176
	ds_store_b128 v181, v[36:39] offset:192
	;; [unrolled: 1-line block ×6, first 2 shown]
	global_wb scope:SCOPE_SE
	s_wait_dscnt 0x0
	s_wait_kmcnt 0x0
	s_barrier_signal -1
	s_barrier_wait -1
	global_inv scope:SCOPE_SE
	ds_load_b128 v[0:3], v181
	ds_load_b128 v[4:7], v181 offset:16
	ds_load_b128 v[8:11], v181 offset:32
	s_wait_dscnt 0x2
	v_mul_f64_e32 v[12:13], s[86:87], v[2:3]
	v_mul_f64_e32 v[14:15], s[86:87], v[0:1]
	s_wait_dscnt 0x1
	v_mul_f64_e32 v[16:17], s[90:91], v[6:7]
	v_mul_f64_e32 v[18:19], s[90:91], v[4:5]
	;; [unrolled: 3-line block ×3, first 2 shown]
	v_fma_f64 v[0:1], s[84:85], v[0:1], v[12:13]
	v_fma_f64 v[12:13], s[84:85], v[2:3], -v[14:15]
	v_fma_f64 v[14:15], s[88:89], v[4:5], v[16:17]
	v_fma_f64 v[16:17], s[88:89], v[6:7], -v[18:19]
	;; [unrolled: 2-line block ×3, first 2 shown]
	v_mad_co_u64_u32 v[22:23], null, s50, v56, 0
	s_delay_alu instid0(VALU_DEP_1)
	v_mov_b32_e32 v6, v23
	v_mul_f64_e32 v[2:3], s[2:3], v[0:1]
	v_mul_f64_e32 v[4:5], s[2:3], v[12:13]
	ds_load_b128 v[10:13], v181 offset:48
	v_mad_co_u64_u32 v[0:1], null, s51, v56, v[6:7]
	v_mul_f64_e32 v[6:7], s[2:3], v[14:15]
	v_mul_f64_e32 v[8:9], s[2:3], v[16:17]
	;; [unrolled: 1-line block ×4, first 2 shown]
	ds_load_b128 v[18:21], v181 offset:64
	v_mov_b32_e32 v23, v0
	s_delay_alu instid0(VALU_DEP_1)
	v_lshlrev_b64_e32 v[0:1], 4, v[22:23]
	ds_load_b128 v[22:25], v181 offset:80
	s_wait_dscnt 0x2
	v_mul_f64_e32 v[26:27], s[98:99], v[12:13]
	v_mul_f64_e32 v[28:29], s[98:99], v[10:11]
	v_add_co_u32 v0, vcc_lo, s0, v0
	s_wait_alu 0xfffd
	v_add_co_ci_u32_e32 v1, vcc_lo, s1, v1, vcc_lo
	s_delay_alu instid0(VALU_DEP_2) | instskip(NEXT) | instid1(VALU_DEP_2)
	v_add_co_u32 v30, vcc_lo, v0, s4
	v_mad_co_u64_u32 v[34:35], null, s48, 48, v[0:1]
	s_wait_alu 0xfffd
	v_add_co_ci_u32_e32 v31, vcc_lo, s5, v1, vcc_lo
	s_wait_dscnt 0x1
	v_mul_f64_e32 v[36:37], s[70:71], v[20:21]
	v_mul_f64_e32 v[38:39], s[70:71], v[18:19]
	v_add_co_u32 v32, s0, v0, s6
	global_store_b128 v[0:1], v[2:5], off
	ds_load_b128 v[2:5], v181 offset:96
	s_wait_alu 0xf1ff
	v_add_co_ci_u32_e64 v33, vcc_lo, s7, v1, s0
	v_mad_co_u64_u32 v[40:41], null, 0xc0, s48, v[0:1]
	global_store_b128 v[30:31], v[6:9], off
	v_mov_b32_e32 v6, v35
	s_wait_dscnt 0x1
	v_mul_f64_e32 v[30:31], s[74:75], v[24:25]
	global_store_b128 v[32:33], v[14:17], off
	v_mul_f64_e32 v[14:15], s[74:75], v[22:23]
	s_lshl_b64 s[0:1], s[48:49], 6
	v_mad_co_u64_u32 v[6:7], null, s49, 48, v[6:7]
	s_delay_alu instid0(VALU_DEP_1)
	v_mov_b32_e32 v35, v6
	ds_load_b128 v[6:9], v181 offset:112
	v_fma_f64 v[16:17], s[96:97], v[10:11], v[26:27]
	v_fma_f64 v[26:27], s[96:97], v[12:13], -v[28:29]
	ds_load_b128 v[10:13], v181 offset:128
	s_wait_dscnt 0x2
	v_mul_f64_e32 v[28:29], s[78:79], v[4:5]
	v_mul_f64_e32 v[32:33], s[78:79], v[2:3]
	v_fma_f64 v[18:19], s[68:69], v[18:19], v[36:37]
	v_fma_f64 v[20:21], s[68:69], v[20:21], -v[38:39]
	s_wait_dscnt 0x1
	v_mul_f64_e32 v[36:37], s[82:83], v[8:9]
	v_mul_f64_e32 v[38:39], s[82:83], v[6:7]
	v_fma_f64 v[22:23], s[72:73], v[22:23], v[30:31]
	s_wait_dscnt 0x0
	v_mul_f64_e32 v[30:31], s[14:15], v[12:13]
	v_fma_f64 v[14:15], s[72:73], v[24:25], -v[14:15]
	v_fma_f64 v[24:25], s[76:77], v[2:3], v[28:29]
	v_fma_f64 v[28:29], s[76:77], v[4:5], -v[32:33]
	v_mul_f64_e32 v[32:33], s[14:15], v[10:11]
	v_mul_f64_e32 v[2:3], s[2:3], v[16:17]
	;; [unrolled: 1-line block ×3, first 2 shown]
	v_fma_f64 v[36:37], s[80:81], v[6:7], v[36:37]
	v_fma_f64 v[38:39], s[80:81], v[8:9], -v[38:39]
	ds_load_b128 v[6:9], v181 offset:144
	v_fma_f64 v[26:27], s[12:13], v[10:11], v[30:31]
	v_mul_f64_e32 v[10:11], s[2:3], v[18:19]
	s_wait_dscnt 0x0
	v_mul_f64_e32 v[18:19], s[18:19], v[6:7]
	v_mul_f64_e32 v[16:17], s[2:3], v[28:29]
	v_fma_f64 v[30:31], s[12:13], v[12:13], -v[32:33]
	v_mul_f64_e32 v[32:33], s[18:19], v[8:9]
	v_mul_f64_e32 v[12:13], s[2:3], v[20:21]
	global_store_b128 v[34:35], v[2:5], off
	v_mul_f64_e32 v[2:3], s[2:3], v[22:23]
	v_mul_f64_e32 v[4:5], s[2:3], v[14:15]
	;; [unrolled: 1-line block ×3, first 2 shown]
	v_mad_co_u64_u32 v[22:23], null, 0x50, s48, v[0:1]
	v_mad_co_u64_u32 v[28:29], null, 0x60, s48, v[0:1]
	s_wait_alu 0xfffe
	v_add_co_u32 v20, vcc_lo, v0, s0
	v_mad_co_u64_u32 v[34:35], null, 0x70, s48, v[0:1]
	s_wait_alu 0xfffd
	v_add_co_ci_u32_e32 v21, vcc_lo, s1, v1, vcc_lo
	s_lshl_b64 s[0:1], s[48:49], 7
	v_fma_f64 v[24:25], s[16:17], v[6:7], v[32:33]
	v_fma_f64 v[32:33], s[16:17], v[8:9], -v[18:19]
	v_mul_f64_e32 v[6:7], s[2:3], v[36:37]
	v_mul_f64_e32 v[8:9], s[2:3], v[38:39]
	v_mov_b32_e32 v18, v23
	global_store_b128 v[20:21], v[10:13], off
	v_mul_f64_e32 v[10:11], s[2:3], v[26:27]
	v_mul_f64_e32 v[12:13], s[2:3], v[30:31]
	v_mad_co_u64_u32 v[18:19], null, 0x50, s49, v[18:19]
	v_mov_b32_e32 v19, v29
	v_mov_b32_e32 v29, v35
	s_delay_alu instid0(VALU_DEP_2) | instskip(NEXT) | instid1(VALU_DEP_4)
	v_mad_co_u64_u32 v[26:27], null, 0x60, s49, v[19:20]
	v_mov_b32_e32 v23, v18
	s_delay_alu instid0(VALU_DEP_3)
	v_mad_co_u64_u32 v[30:31], null, 0x70, s49, v[29:30]
	ds_load_b128 v[18:21], v181 offset:160
	v_mov_b32_e32 v29, v26
	s_clause 0x1
	global_store_b128 v[22:23], v[2:5], off
	global_store_b128 v[28:29], v[14:17], off
	v_mad_co_u64_u32 v[26:27], null, 0x90, s48, v[0:1]
	ds_load_b128 v[14:17], v181 offset:176
	v_mov_b32_e32 v35, v30
	v_mul_f64_e32 v[2:3], s[2:3], v[24:25]
	v_mul_f64_e32 v[4:5], s[2:3], v[32:33]
	ds_load_b128 v[22:25], v181 offset:192
	global_store_b128 v[34:35], v[6:9], off
	v_mov_b32_e32 v6, v27
	s_wait_alu 0xfffe
	v_add_co_u32 v7, vcc_lo, v0, s0
	s_wait_dscnt 0x2
	v_mul_f64_e32 v[28:29], s[22:23], v[20:21]
	v_mul_f64_e32 v[30:31], s[22:23], v[18:19]
	s_wait_alu 0xfffd
	v_add_co_ci_u32_e32 v8, vcc_lo, s1, v1, vcc_lo
	v_mad_co_u64_u32 v[32:33], null, 0x90, s49, v[6:7]
	s_lshl_b64 s[0:1], s[48:49], 8
	global_store_b128 v[7:8], v[10:13], off
	s_wait_dscnt 0x1
	v_mul_f64_e32 v[10:11], s[26:27], v[16:17]
	v_mul_f64_e32 v[12:13], s[26:27], v[14:15]
	ds_load_b128 v[6:9], v181 offset:208
	v_mov_b32_e32 v27, v32
	s_wait_dscnt 0x1
	v_mul_f64_e32 v[32:33], s[54:55], v[24:25]
	v_mul_f64_e32 v[34:35], s[54:55], v[22:23]
	global_store_b128 v[26:27], v[2:5], off
	ds_load_b128 v[2:5], v181 offset:224
	s_wait_dscnt 0x1
	v_mul_f64_e32 v[26:27], s[58:59], v[8:9]
	v_fma_f64 v[18:19], s[20:21], v[18:19], v[28:29]
	v_fma_f64 v[20:21], s[20:21], v[20:21], -v[30:31]
	v_mul_f64_e32 v[28:29], s[58:59], v[6:7]
	v_fma_f64 v[14:15], s[24:25], v[14:15], v[10:11]
	v_fma_f64 v[16:17], s[24:25], v[16:17], -v[12:13]
	ds_load_b128 v[10:13], v181 offset:240
	v_fma_f64 v[22:23], s[52:53], v[22:23], v[32:33]
	s_wait_dscnt 0x1
	v_mul_f64_e32 v[30:31], s[62:63], v[4:5]
	v_mul_f64_e32 v[32:33], s[62:63], v[2:3]
	v_fma_f64 v[24:25], s[52:53], v[24:25], -v[34:35]
	v_fma_f64 v[26:27], s[56:57], v[6:7], v[26:27]
	v_fma_f64 v[28:29], s[56:57], v[8:9], -v[28:29]
	v_fma_f64 v[30:31], s[60:61], v[2:3], v[30:31]
	v_fma_f64 v[32:33], s[60:61], v[4:5], -v[32:33]
	ds_load_b128 v[2:5], v181 offset:256
	s_wait_dscnt 0x1
	v_mul_f64_e32 v[6:7], s[66:67], v[12:13]
	v_mul_f64_e32 v[8:9], s[66:67], v[10:11]
	s_delay_alu instid0(VALU_DEP_2) | instskip(NEXT) | instid1(VALU_DEP_2)
	v_fma_f64 v[34:35], s[64:65], v[10:11], v[6:7]
	v_fma_f64 v[36:37], s[64:65], v[12:13], -v[8:9]
	s_wait_dscnt 0x0
	v_mul_f64_e32 v[10:11], s[10:11], v[4:5]
	v_mul_f64_e32 v[12:13], s[10:11], v[2:3]
	;; [unrolled: 1-line block ×4, first 2 shown]
	v_mad_co_u64_u32 v[18:19], null, 0xa0, s48, v[0:1]
	v_fma_f64 v[20:21], s[8:9], v[2:3], v[10:11]
	v_fma_f64 v[38:39], s[8:9], v[4:5], -v[12:13]
	v_mul_f64_e32 v[2:3], s[2:3], v[14:15]
	v_mul_f64_e32 v[4:5], s[2:3], v[16:17]
	v_mov_b32_e32 v10, v19
	v_mul_f64_e32 v[14:15], s[2:3], v[34:35]
	v_mul_f64_e32 v[16:17], s[2:3], v[36:37]
	s_delay_alu instid0(VALU_DEP_3) | instskip(SKIP_1) | instid1(VALU_DEP_1)
	v_mad_co_u64_u32 v[10:11], null, 0xa0, s49, v[10:11]
	v_mad_co_u64_u32 v[11:12], null, 0xb0, s48, v[0:1]
	v_dual_mov_b32 v19, v10 :: v_dual_mov_b32 v10, v12
	global_store_b128 v[18:19], v[6:9], off
	v_mov_b32_e32 v6, v41
	v_mad_co_u64_u32 v[12:13], null, 0xb0, s49, v[10:11]
	v_mul_f64_e32 v[8:9], s[2:3], v[28:29]
	v_mul_f64_e32 v[18:19], s[2:3], v[20:21]
	;; [unrolled: 1-line block ×3, first 2 shown]
	global_store_b128 v[11:12], v[2:5], off
	v_mul_f64_e32 v[2:3], s[2:3], v[22:23]
	v_mul_f64_e32 v[4:5], s[2:3], v[24:25]
	v_mad_co_u64_u32 v[22:23], null, 0xc0, s49, v[6:7]
	v_mul_f64_e32 v[6:7], s[2:3], v[26:27]
	v_mul_f64_e32 v[10:11], s[2:3], v[30:31]
	;; [unrolled: 1-line block ×3, first 2 shown]
	v_mad_co_u64_u32 v[25:26], null, 0xe0, s48, v[0:1]
	v_mad_co_u64_u32 v[27:28], null, 0xf0, s48, v[0:1]
	;; [unrolled: 1-line block ×3, first 2 shown]
	v_mov_b32_e32 v41, v22
	s_wait_alu 0xfffe
	v_add_co_u32 v0, vcc_lo, v0, s0
	v_mov_b32_e32 v22, v26
	v_mov_b32_e32 v26, v28
	s_wait_alu 0xfffd
	v_add_co_ci_u32_e32 v1, vcc_lo, s1, v1, vcc_lo
	v_mad_co_u64_u32 v[28:29], null, 0xd0, s49, v[24:25]
	v_mad_co_u64_u32 v[29:30], null, 0xe0, s49, v[22:23]
	;; [unrolled: 1-line block ×3, first 2 shown]
	s_delay_alu instid0(VALU_DEP_3) | instskip(NEXT) | instid1(VALU_DEP_3)
	v_mov_b32_e32 v24, v28
	v_mov_b32_e32 v26, v29
	s_delay_alu instid0(VALU_DEP_3)
	v_mov_b32_e32 v28, v30
	s_clause 0x4
	global_store_b128 v[40:41], v[2:5], off
	global_store_b128 v[23:24], v[6:9], off
	;; [unrolled: 1-line block ×5, first 2 shown]
.LBB0_2:
	s_nop 0
	s_sendmsg sendmsg(MSG_DEALLOC_VGPRS)
	s_endpgm
	.section	.rodata,"a",@progbits
	.p2align	6, 0x0
	.amdhsa_kernel bluestein_single_back_len17_dim1_dp_op_CI_CI
		.amdhsa_group_segment_fixed_size 32640
		.amdhsa_private_segment_fixed_size 0
		.amdhsa_kernarg_size 104
		.amdhsa_user_sgpr_count 2
		.amdhsa_user_sgpr_dispatch_ptr 0
		.amdhsa_user_sgpr_queue_ptr 0
		.amdhsa_user_sgpr_kernarg_segment_ptr 1
		.amdhsa_user_sgpr_dispatch_id 0
		.amdhsa_user_sgpr_private_segment_size 0
		.amdhsa_wavefront_size32 1
		.amdhsa_uses_dynamic_stack 0
		.amdhsa_enable_private_segment 0
		.amdhsa_system_sgpr_workgroup_id_x 1
		.amdhsa_system_sgpr_workgroup_id_y 0
		.amdhsa_system_sgpr_workgroup_id_z 0
		.amdhsa_system_sgpr_workgroup_info 0
		.amdhsa_system_vgpr_workitem_id 0
		.amdhsa_next_free_vgpr 236
		.amdhsa_next_free_sgpr 104
		.amdhsa_reserve_vcc 1
		.amdhsa_float_round_mode_32 0
		.amdhsa_float_round_mode_16_64 0
		.amdhsa_float_denorm_mode_32 3
		.amdhsa_float_denorm_mode_16_64 3
		.amdhsa_fp16_overflow 0
		.amdhsa_workgroup_processor_mode 1
		.amdhsa_memory_ordered 1
		.amdhsa_forward_progress 0
		.amdhsa_round_robin_scheduling 0
		.amdhsa_exception_fp_ieee_invalid_op 0
		.amdhsa_exception_fp_denorm_src 0
		.amdhsa_exception_fp_ieee_div_zero 0
		.amdhsa_exception_fp_ieee_overflow 0
		.amdhsa_exception_fp_ieee_underflow 0
		.amdhsa_exception_fp_ieee_inexact 0
		.amdhsa_exception_int_div_zero 0
	.end_amdhsa_kernel
	.text
.Lfunc_end0:
	.size	bluestein_single_back_len17_dim1_dp_op_CI_CI, .Lfunc_end0-bluestein_single_back_len17_dim1_dp_op_CI_CI
                                        ; -- End function
	.section	.AMDGPU.csdata,"",@progbits
; Kernel info:
; codeLenInByte = 14676
; NumSgprs: 106
; NumVgprs: 236
; ScratchSize: 0
; MemoryBound: 0
; FloatMode: 240
; IeeeMode: 1
; LDSByteSize: 32640 bytes/workgroup (compile time only)
; SGPRBlocks: 13
; VGPRBlocks: 29
; NumSGPRsForWavesPerEU: 106
; NumVGPRsForWavesPerEU: 236
; Occupancy: 4
; WaveLimiterHint : 1
; COMPUTE_PGM_RSRC2:SCRATCH_EN: 0
; COMPUTE_PGM_RSRC2:USER_SGPR: 2
; COMPUTE_PGM_RSRC2:TRAP_HANDLER: 0
; COMPUTE_PGM_RSRC2:TGID_X_EN: 1
; COMPUTE_PGM_RSRC2:TGID_Y_EN: 0
; COMPUTE_PGM_RSRC2:TGID_Z_EN: 0
; COMPUTE_PGM_RSRC2:TIDIG_COMP_CNT: 0
	.text
	.p2alignl 7, 3214868480
	.fill 96, 4, 3214868480
	.type	__hip_cuid_d86cd946bfd68cde,@object ; @__hip_cuid_d86cd946bfd68cde
	.section	.bss,"aw",@nobits
	.globl	__hip_cuid_d86cd946bfd68cde
__hip_cuid_d86cd946bfd68cde:
	.byte	0                               ; 0x0
	.size	__hip_cuid_d86cd946bfd68cde, 1

	.ident	"AMD clang version 19.0.0git (https://github.com/RadeonOpenCompute/llvm-project roc-6.4.0 25133 c7fe45cf4b819c5991fe208aaa96edf142730f1d)"
	.section	".note.GNU-stack","",@progbits
	.addrsig
	.addrsig_sym __hip_cuid_d86cd946bfd68cde
	.amdgpu_metadata
---
amdhsa.kernels:
  - .args:
      - .actual_access:  read_only
        .address_space:  global
        .offset:         0
        .size:           8
        .value_kind:     global_buffer
      - .actual_access:  read_only
        .address_space:  global
        .offset:         8
        .size:           8
        .value_kind:     global_buffer
      - .actual_access:  read_only
        .address_space:  global
        .offset:         16
        .size:           8
        .value_kind:     global_buffer
      - .actual_access:  read_only
        .address_space:  global
        .offset:         24
        .size:           8
        .value_kind:     global_buffer
      - .actual_access:  read_only
        .address_space:  global
        .offset:         32
        .size:           8
        .value_kind:     global_buffer
      - .offset:         40
        .size:           8
        .value_kind:     by_value
      - .address_space:  global
        .offset:         48
        .size:           8
        .value_kind:     global_buffer
      - .address_space:  global
        .offset:         56
        .size:           8
        .value_kind:     global_buffer
      - .address_space:  global
        .offset:         64
        .size:           8
        .value_kind:     global_buffer
      - .address_space:  global
        .offset:         72
        .size:           8
        .value_kind:     global_buffer
      - .offset:         80
        .size:           4
        .value_kind:     by_value
      - .address_space:  global
        .offset:         88
        .size:           8
        .value_kind:     global_buffer
      - .address_space:  global
        .offset:         96
        .size:           8
        .value_kind:     global_buffer
    .group_segment_fixed_size: 32640
    .kernarg_segment_align: 8
    .kernarg_segment_size: 104
    .language:       OpenCL C
    .language_version:
      - 2
      - 0
    .max_flat_workgroup_size: 120
    .name:           bluestein_single_back_len17_dim1_dp_op_CI_CI
    .private_segment_fixed_size: 0
    .sgpr_count:     106
    .sgpr_spill_count: 36
    .symbol:         bluestein_single_back_len17_dim1_dp_op_CI_CI.kd
    .uniform_work_group_size: 1
    .uses_dynamic_stack: false
    .vgpr_count:     236
    .vgpr_spill_count: 0
    .wavefront_size: 32
    .workgroup_processor_mode: 1
amdhsa.target:   amdgcn-amd-amdhsa--gfx1201
amdhsa.version:
  - 1
  - 2
...

	.end_amdgpu_metadata
